;; amdgpu-corpus repo=pytorch/pytorch kind=compiled arch=gfx90a opt=O3
	.text
	.amdgcn_target "amdgcn-amd-amdhsa--gfx90a"
	.amdhsa_code_object_version 6
	.section	.text._ZN2at6native12_GLOBAL__N_125multi_tensor_apply_kernelINS1_18TensorListMetadataILi4EEENS1_20TernaryOpListFunctorIdLi4ELi3ELi3EEEJNS0_11LerpFunctorIdEEEEEvT_T0_DpT1_,"axG",@progbits,_ZN2at6native12_GLOBAL__N_125multi_tensor_apply_kernelINS1_18TensorListMetadataILi4EEENS1_20TernaryOpListFunctorIdLi4ELi3ELi3EEEJNS0_11LerpFunctorIdEEEEEvT_T0_DpT1_,comdat
	.globl	_ZN2at6native12_GLOBAL__N_125multi_tensor_apply_kernelINS1_18TensorListMetadataILi4EEENS1_20TernaryOpListFunctorIdLi4ELi3ELi3EEEJNS0_11LerpFunctorIdEEEEEvT_T0_DpT1_ ; -- Begin function _ZN2at6native12_GLOBAL__N_125multi_tensor_apply_kernelINS1_18TensorListMetadataILi4EEENS1_20TernaryOpListFunctorIdLi4ELi3ELi3EEEJNS0_11LerpFunctorIdEEEEEvT_T0_DpT1_
	.p2align	8
	.type	_ZN2at6native12_GLOBAL__N_125multi_tensor_apply_kernelINS1_18TensorListMetadataILi4EEENS1_20TernaryOpListFunctorIdLi4ELi3ELi3EEEJNS0_11LerpFunctorIdEEEEEvT_T0_DpT1_,@function
_ZN2at6native12_GLOBAL__N_125multi_tensor_apply_kernelINS1_18TensorListMetadataILi4EEENS1_20TernaryOpListFunctorIdLi4ELi3ELi3EEEJNS0_11LerpFunctorIdEEEEEvT_T0_DpT1_: ; @_ZN2at6native12_GLOBAL__N_125multi_tensor_apply_kernelINS1_18TensorListMetadataILi4EEENS1_20TernaryOpListFunctorIdLi4ELi3ELi3EEEJNS0_11LerpFunctorIdEEEEEvT_T0_DpT1_
; %bb.0:
	v_mov_b32_e32 v1, s6
	global_load_ubyte v1, v1, s[4:5] offset:1440
	s_add_u32 s0, s4, s6
	s_mul_hi_u32 s2, s6, 3
	s_mul_i32 s6, s6, 3
	s_addc_u32 s7, s5, 0
	s_add_u32 s6, s0, s6
	s_addc_u32 s7, s7, s2
	s_load_dword s6, s[6:7], 0x6e0
	s_mov_b32 s1, 0
	s_mov_b32 s3, s1
	;; [unrolled: 1-line block ×3, first 2 shown]
	s_waitcnt lgkmcnt(0)
	s_ashr_i32 s7, s6, 31
	s_lshl_b64 s[8:9], s[6:7], 19
	s_waitcnt vmcnt(0)
	v_readfirstlane_b32 s0, v1
	s_lshl_b32 s0, s0, 3
	s_load_dwordx2 s[22:23], s[4:5], s0 offset:0x480
	s_load_dwordx2 s[14:15], s[4:5], s0 offset:0x0
	;; [unrolled: 1-line block ×5, first 2 shown]
	s_waitcnt lgkmcnt(0)
	s_add_u32 s26, s14, s8
	s_addc_u32 s27, s15, s9
	s_and_b32 s0, s26, 31
	s_add_u32 s28, s20, s8
	s_addc_u32 s29, s21, s9
	s_and_b32 s2, s28, 31
	s_cmp_lg_u64 s[2:3], 0
	s_cselect_b64 s[2:3], -1, 0
	s_add_u32 s30, s18, s8
	s_addc_u32 s31, s19, s9
	s_add_u32 s33, s16, s8
	s_addc_u32 s34, s17, s9
	s_or_b32 s10, s33, s30
	s_and_b32 s10, s10, 31
	s_cmp_lg_u32 s10, 0
	s_cselect_b64 s[10:11], -1, 0
	s_lshl_b64 s[6:7], s[6:7], 16
	s_or_b64 s[2:3], s[10:11], s[2:3]
	s_sub_u32 s10, s22, s6
	s_subb_u32 s11, s23, s7
	s_and_b32 s12, s22, 3
	s_or_b64 s[6:7], s[0:1], s[12:13]
	s_cmp_lg_u64 s[6:7], 0
	s_cselect_b64 s[6:7], -1, 0
	s_or_b64 s[2:3], s[2:3], s[6:7]
	s_andn2_b64 vcc, exec, s[2:3]
	s_mov_b64 s[2:3], -1
	s_cbranch_vccz .LBB0_5
; %bb.1:
	v_mov_b32_e32 v3, 0
	v_lshlrev_b32_e32 v2, 2, v0
	v_cmp_gt_i64_e32 vcc, s[10:11], v[2:3]
	s_and_saveexec_b64 s[12:13], vcc
	s_cbranch_execz .LBB0_4
; %bb.2:
	s_load_dword s0, s[4:5], 0xbfc
	v_lshlrev_b32_e32 v4, 5, v0
	s_mov_b64 s[22:23], 0
	s_mov_b64 s[24:25], 0xffff
	v_mov_b32_e32 v1, s1
	s_waitcnt lgkmcnt(0)
	s_and_b32 s0, s0, 0xffff
	v_add_lshl_u32 v2, v0, s0, 2
	s_lshl_b32 s35, s0, 2
	s_lshl_b32 s36, s0, 5
.LBB0_3:                                ; =>This Inner Loop Header: Depth=1
	v_mov_b32_e32 v5, s27
	v_add_co_u32_e64 v34, s[2:3], s26, v4
	v_mov_b32_e32 v6, s29
	v_add_co_u32_e32 v30, vcc, s28, v4
	v_mov_b32_e32 v7, s31
	v_add_co_u32_e64 v32, s[0:1], s30, v4
	v_addc_co_u32_e64 v35, s[2:3], 0, v5, s[2:3]
	v_addc_co_u32_e32 v31, vcc, 0, v6, vcc
	v_addc_co_u32_e64 v33, vcc, 0, v7, s[0:1]
	global_load_dwordx4 v[6:9], v[34:35], off
	global_load_dwordx4 v[10:13], v[30:31], off
	;; [unrolled: 1-line block ×3, first 2 shown]
	global_load_dwordx4 v[18:21], v[34:35], off offset:16
	global_load_dwordx4 v[22:25], v[30:31], off offset:16
	;; [unrolled: 1-line block ×3, first 2 shown]
	v_cmp_le_i64_e32 vcc, s[10:11], v[2:3]
	v_cmp_lt_u64_e64 s[0:1], s[24:25], v[2:3]
	s_or_b64 s[0:1], vcc, s[0:1]
	v_add_co_u32_e64 v2, s[2:3], s35, v2
	s_add_u32 s26, s26, s36
	v_addc_co_u32_e64 v3, s[2:3], v3, v1, s[2:3]
	s_addc_u32 s27, s27, 0
	v_add_co_u32_e64 v30, s[2:3], s33, v4
	s_add_u32 s33, s33, s36
	v_mov_b32_e32 v5, s34
	s_addc_u32 s34, s34, 0
	s_add_u32 s28, s28, s36
	s_addc_u32 s29, s29, 0
	s_add_u32 s30, s30, s36
	s_addc_u32 s31, s31, 0
	v_addc_co_u32_e64 v31, s[2:3], 0, v5, s[2:3]
	s_and_b64 s[0:1], exec, s[0:1]
	s_or_b64 s[22:23], s[0:1], s[22:23]
	s_waitcnt vmcnt(4)
	v_add_f64 v[32:33], v[10:11], -v[6:7]
	s_waitcnt vmcnt(3)
	v_add_f64 v[34:35], -v[14:15], 1.0
	v_add_f64 v[36:37], v[12:13], -v[8:9]
	v_add_f64 v[38:39], -v[16:17], 1.0
	s_waitcnt vmcnt(1)
	v_add_f64 v[40:41], v[22:23], -v[18:19]
	s_waitcnt vmcnt(0)
	v_add_f64 v[42:43], -v[26:27], 1.0
	v_add_f64 v[44:45], v[24:25], -v[20:21]
	v_add_f64 v[46:47], -v[28:29], 1.0
	v_fmac_f64_e32 v[6:7], v[32:33], v[14:15]
	v_fma_f64 v[10:11], -v[32:33], v[34:35], v[10:11]
	v_fmac_f64_e32 v[8:9], v[36:37], v[16:17]
	v_fma_f64 v[12:13], -v[36:37], v[38:39], v[12:13]
	v_cmp_lt_f64_e64 vcc, |v[16:17]|, 0.5
	v_cmp_lt_f64_e64 s[6:7], |v[14:15]|, 0.5
	v_fmac_f64_e32 v[18:19], v[40:41], v[26:27]
	v_fma_f64 v[16:17], -v[40:41], v[42:43], v[22:23]
	v_cmp_lt_f64_e64 s[0:1], |v[26:27]|, 0.5
	v_fmac_f64_e32 v[20:21], v[44:45], v[28:29]
	v_fma_f64 v[22:23], -v[44:45], v[46:47], v[24:25]
	v_cmp_lt_f64_e64 s[2:3], |v[28:29]|, 0.5
	v_cndmask_b32_e64 v7, v11, v7, s[6:7]
	v_cndmask_b32_e64 v6, v10, v6, s[6:7]
	v_cndmask_b32_e32 v9, v13, v9, vcc
	v_cndmask_b32_e32 v8, v12, v8, vcc
	v_cndmask_b32_e64 v11, v17, v19, s[0:1]
	v_cndmask_b32_e64 v10, v16, v18, s[0:1]
	;; [unrolled: 1-line block ×4, first 2 shown]
	global_store_dwordx4 v[30:31], v[6:9], off
	global_store_dwordx4 v[30:31], v[10:13], off offset:16
	s_andn2_b64 exec, exec, s[22:23]
	s_cbranch_execnz .LBB0_3
.LBB0_4:
	s_or_b64 exec, exec, s[12:13]
	s_mov_b64 s[2:3], 0
.LBB0_5:
	s_andn2_b64 vcc, exec, s[2:3]
	s_cbranch_vccnz .LBB0_33
; %bb.6:
	v_cmp_lt_i64_e64 s[0:1], s[10:11], 1
	s_and_b64 vcc, exec, s[0:1]
	s_cbranch_vccnz .LBB0_33
; %bb.7:
	s_load_dword s0, s[4:5], 0xbfc
	v_mov_b32_e32 v2, 0x10000
	v_mov_b32_e32 v3, 0
	v_cmp_lt_u64_e32 vcc, s[10:11], v[2:3]
	v_lshlrev_b32_e32 v30, 3, v0
	s_waitcnt lgkmcnt(0)
	s_and_b32 s2, s0, 0xffff
	s_and_b64 s[0:1], vcc, exec
	v_mov_b32_e32 v21, s15
	v_add_co_u32_e32 v2, vcc, s14, v30
	v_addc_co_u32_e32 v1, vcc, 0, v21, vcc
	v_mov_b32_e32 v31, 0
	v_mov_b32_e32 v23, s21
	v_add_co_u32_e32 v4, vcc, s20, v30
	v_addc_co_u32_e32 v3, vcc, 0, v23, vcc
	v_mad_u64_u32 v[12:13], s[0:1], s2, 24, v[30:31]
	v_add_co_u32_e32 v6, vcc, s14, v12
	v_addc_co_u32_e32 v5, vcc, v21, v13, vcc
	v_add_co_u32_e32 v8, vcc, s20, v12
	v_addc_co_u32_e32 v7, vcc, v23, v13, vcc
	v_mov_b32_e32 v27, s19
	v_add_co_u32_e32 v10, vcc, s18, v12
	v_addc_co_u32_e32 v9, vcc, v27, v13, vcc
	v_mov_b32_e32 v34, s17
	v_add_co_u32_e32 v12, vcc, s16, v12
	s_mul_i32 s4, s2, 3
	v_addc_co_u32_e32 v11, vcc, v34, v13, vcc
	v_add_co_u32_e32 v33, vcc, s4, v0
	v_addc_co_u32_e64 v58, s[0:1], 0, 0, vcc
	s_cselect_b32 s13, s11, 0
	s_cselect_b32 s12, s10, 0x10000
	s_lshl_b32 s0, s2, 4
	v_add_co_u32_e32 v19, vcc, s0, v30
	v_addc_co_u32_e64 v22, s[0:1], 0, 0, vcc
	v_add_co_u32_e32 v14, vcc, s14, v19
	v_addc_co_u32_e32 v13, vcc, v21, v22, vcc
	v_add_co_u32_e32 v16, vcc, s20, v19
	v_addc_co_u32_e32 v15, vcc, v23, v22, vcc
	;; [unrolled: 2-line block ×3, first 2 shown]
	v_add_co_u32_e32 v20, vcc, s16, v19
	s_lshl_b32 s3, s2, 1
	v_addc_co_u32_e32 v19, vcc, v34, v22, vcc
	v_add_co_u32_e32 v59, vcc, s3, v0
	v_addc_co_u32_e64 v60, s[0:1], 0, 0, vcc
	v_add_co_u32_e32 v61, vcc, s2, v0
	v_lshlrev_b32_e32 v29, 3, v61
	v_addc_co_u32_e64 v62, s[0:1], 0, 0, vcc
	v_add_co_u32_e32 v22, vcc, s14, v29
	v_addc_co_u32_e32 v21, vcc, 0, v21, vcc
	v_add_co_u32_e32 v24, vcc, s20, v29
	v_addc_co_u32_e32 v23, vcc, 0, v23, vcc
	;; [unrolled: 2-line block ×4, first 2 shown]
	v_add_co_u32_e32 v30, vcc, s16, v30
	v_add_co_u32_e64 v32, s[0:1], s16, v29
	s_mov_b32 s22, 0
	s_lshl_b32 s23, s2, 2
	s_lshl_b32 s24, s2, 5
	s_mov_b64 s[14:15], 0
	v_addc_co_u32_e32 v29, vcc, 0, v34, vcc
	v_addc_co_u32_e64 v31, vcc, 0, v34, s[0:1]
	s_branch .LBB0_9
.LBB0_8:                                ;   in Loop: Header=BB0_9 Depth=1
	s_or_b64 exec, exec, s[0:1]
	s_add_u32 s14, s14, s23
	s_addc_u32 s15, s15, 0
	s_waitcnt vmcnt(0)
	v_pk_mov_b32 v[34:35], s[10:11], s[10:11] op_sel:[0,1]
	v_cmp_ge_i64_e32 vcc, s[14:15], v[34:35]
	v_mov_b32_e32 v34, 0xffff
	v_mov_b32_e32 v35, 0
	v_cmp_gt_u64_e64 s[0:1], s[14:15], v[34:35]
	s_or_b64 s[0:1], vcc, s[0:1]
	v_mov_b32_e32 v34, s22
	v_add_co_u32_e32 v2, vcc, s24, v2
	v_addc_co_u32_e32 v1, vcc, v1, v34, vcc
	v_add_co_u32_e32 v4, vcc, s24, v4
	v_addc_co_u32_e32 v3, vcc, v3, v34, vcc
	;; [unrolled: 2-line block ×16, first 2 shown]
	s_and_b64 vcc, exec, s[0:1]
	s_cbranch_vccnz .LBB0_33
.LBB0_9:                                ; =>This Inner Loop Header: Depth=1
	v_mov_b32_e32 v35, s15
	v_add_co_u32_e32 v34, vcc, s14, v0
	v_addc_co_u32_e32 v35, vcc, 0, v35, vcc
	v_cmp_gt_u64_e32 vcc, s[12:13], v[34:35]
	v_pk_mov_b32 v[34:35], 0, 0
	v_pk_mov_b32 v[36:37], v[34:35], v[34:35] op_sel:[0,1]
	v_pk_mov_b32 v[38:39], v[34:35], v[34:35] op_sel:[0,1]
	s_and_saveexec_b64 s[2:3], vcc
	s_cbranch_execz .LBB0_11
; %bb.10:                               ;   in Loop: Header=BB0_9 Depth=1
	v_mov_b32_e32 v36, s9
	v_add_co_u32_e64 v40, s[0:1], s8, v4
	v_addc_co_u32_e64 v41, s[0:1], v3, v36, s[0:1]
	v_add_co_u32_e64 v42, s[0:1], s8, v2
	v_addc_co_u32_e64 v43, s[0:1], v1, v36, s[0:1]
	global_load_dwordx2 v[36:37], v[42:43], off
	global_load_dwordx2 v[38:39], v[40:41], off
.LBB0_11:                               ;   in Loop: Header=BB0_9 Depth=1
	s_or_b64 exec, exec, s[2:3]
	s_and_saveexec_b64 s[2:3], vcc
	s_cbranch_execz .LBB0_13
; %bb.12:                               ;   in Loop: Header=BB0_9 Depth=1
	v_mov_b32_e32 v35, s9
	v_add_co_u32_e64 v34, s[0:1], s8, v26
	v_addc_co_u32_e64 v35, s[0:1], v25, v35, s[0:1]
	global_load_dwordx2 v[34:35], v[34:35], off
.LBB0_13:                               ;   in Loop: Header=BB0_9 Depth=1
	s_or_b64 exec, exec, s[2:3]
	v_mov_b32_e32 v41, s15
	v_add_co_u32_e64 v40, s[0:1], s14, v61
	v_addc_co_u32_e64 v41, s[0:1], v62, v41, s[0:1]
	v_cmp_gt_u64_e64 s[0:1], s[12:13], v[40:41]
	v_pk_mov_b32 v[40:41], 0, 0
	v_pk_mov_b32 v[42:43], v[40:41], v[40:41] op_sel:[0,1]
	v_pk_mov_b32 v[44:45], v[40:41], v[40:41] op_sel:[0,1]
	s_and_saveexec_b64 s[4:5], s[0:1]
	s_cbranch_execz .LBB0_15
; %bb.14:                               ;   in Loop: Header=BB0_9 Depth=1
	v_mov_b32_e32 v42, s9
	v_add_co_u32_e64 v46, s[2:3], s8, v24
	v_addc_co_u32_e64 v47, s[2:3], v23, v42, s[2:3]
	v_add_co_u32_e64 v48, s[2:3], s8, v22
	v_addc_co_u32_e64 v49, s[2:3], v21, v42, s[2:3]
	global_load_dwordx2 v[42:43], v[48:49], off
	global_load_dwordx2 v[44:45], v[46:47], off
.LBB0_15:                               ;   in Loop: Header=BB0_9 Depth=1
	s_or_b64 exec, exec, s[4:5]
	s_and_saveexec_b64 s[4:5], s[0:1]
	s_cbranch_execz .LBB0_17
; %bb.16:                               ;   in Loop: Header=BB0_9 Depth=1
	v_mov_b32_e32 v41, s9
	v_add_co_u32_e64 v40, s[2:3], s8, v28
	v_addc_co_u32_e64 v41, s[2:3], v27, v41, s[2:3]
	global_load_dwordx2 v[40:41], v[40:41], off
.LBB0_17:                               ;   in Loop: Header=BB0_9 Depth=1
	s_or_b64 exec, exec, s[4:5]
	v_mov_b32_e32 v47, s15
	v_add_co_u32_e64 v46, s[2:3], s14, v59
	v_addc_co_u32_e64 v47, s[2:3], v60, v47, s[2:3]
	v_cmp_gt_u64_e64 s[2:3], s[12:13], v[46:47]
	v_pk_mov_b32 v[46:47], 0, 0
	v_pk_mov_b32 v[48:49], v[46:47], v[46:47] op_sel:[0,1]
	v_pk_mov_b32 v[50:51], v[46:47], v[46:47] op_sel:[0,1]
	s_and_saveexec_b64 s[6:7], s[2:3]
	s_cbranch_execz .LBB0_19
; %bb.18:                               ;   in Loop: Header=BB0_9 Depth=1
	v_mov_b32_e32 v48, s9
	v_add_co_u32_e64 v52, s[4:5], s8, v16
	v_addc_co_u32_e64 v53, s[4:5], v15, v48, s[4:5]
	v_add_co_u32_e64 v54, s[4:5], s8, v14
	v_addc_co_u32_e64 v55, s[4:5], v13, v48, s[4:5]
	global_load_dwordx2 v[48:49], v[54:55], off
	global_load_dwordx2 v[50:51], v[52:53], off
.LBB0_19:                               ;   in Loop: Header=BB0_9 Depth=1
	s_or_b64 exec, exec, s[6:7]
	s_and_saveexec_b64 s[6:7], s[2:3]
	s_cbranch_execz .LBB0_21
; %bb.20:                               ;   in Loop: Header=BB0_9 Depth=1
	v_mov_b32_e32 v47, s9
	v_add_co_u32_e64 v46, s[4:5], s8, v18
	v_addc_co_u32_e64 v47, s[4:5], v17, v47, s[4:5]
	global_load_dwordx2 v[46:47], v[46:47], off
.LBB0_21:                               ;   in Loop: Header=BB0_9 Depth=1
	s_or_b64 exec, exec, s[6:7]
	v_mov_b32_e32 v53, s15
	v_add_co_u32_e64 v52, s[4:5], s14, v33
	v_addc_co_u32_e64 v53, s[4:5], v58, v53, s[4:5]
	v_cmp_gt_u64_e64 s[4:5], s[12:13], v[52:53]
	v_pk_mov_b32 v[52:53], 0, 0
	v_pk_mov_b32 v[54:55], v[52:53], v[52:53] op_sel:[0,1]
	v_pk_mov_b32 v[56:57], v[52:53], v[52:53] op_sel:[0,1]
	s_and_saveexec_b64 s[16:17], s[4:5]
	s_cbranch_execnz .LBB0_27
; %bb.22:                               ;   in Loop: Header=BB0_9 Depth=1
	s_or_b64 exec, exec, s[16:17]
	s_and_saveexec_b64 s[16:17], s[4:5]
	s_cbranch_execnz .LBB0_28
.LBB0_23:                               ;   in Loop: Header=BB0_9 Depth=1
	s_or_b64 exec, exec, s[16:17]
	s_and_saveexec_b64 s[6:7], vcc
	s_cbranch_execnz .LBB0_29
.LBB0_24:                               ;   in Loop: Header=BB0_9 Depth=1
	s_or_b64 exec, exec, s[6:7]
	s_and_saveexec_b64 s[6:7], s[0:1]
	s_cbranch_execnz .LBB0_30
.LBB0_25:                               ;   in Loop: Header=BB0_9 Depth=1
	s_or_b64 exec, exec, s[6:7]
	s_and_saveexec_b64 s[0:1], s[2:3]
	s_cbranch_execnz .LBB0_31
.LBB0_26:                               ;   in Loop: Header=BB0_9 Depth=1
	s_or_b64 exec, exec, s[0:1]
	s_and_saveexec_b64 s[0:1], s[4:5]
	s_cbranch_execz .LBB0_8
	s_branch .LBB0_32
.LBB0_27:                               ;   in Loop: Header=BB0_9 Depth=1
	v_mov_b32_e32 v54, s9
	v_add_co_u32_e64 v64, s[6:7], s8, v8
	v_addc_co_u32_e64 v65, s[6:7], v7, v54, s[6:7]
	v_add_co_u32_e64 v66, s[6:7], s8, v6
	v_addc_co_u32_e64 v67, s[6:7], v5, v54, s[6:7]
	global_load_dwordx2 v[54:55], v[66:67], off
	global_load_dwordx2 v[56:57], v[64:65], off
	s_or_b64 exec, exec, s[16:17]
	s_and_saveexec_b64 s[16:17], s[4:5]
	s_cbranch_execz .LBB0_23
.LBB0_28:                               ;   in Loop: Header=BB0_9 Depth=1
	v_mov_b32_e32 v53, s9
	v_add_co_u32_e64 v52, s[6:7], s8, v10
	v_addc_co_u32_e64 v53, s[6:7], v9, v53, s[6:7]
	global_load_dwordx2 v[52:53], v[52:53], off
	s_or_b64 exec, exec, s[16:17]
	s_and_saveexec_b64 s[6:7], vcc
	s_cbranch_execz .LBB0_24
.LBB0_29:                               ;   in Loop: Header=BB0_9 Depth=1
	v_mov_b32_e32 v63, s9
	v_add_co_u32_e32 v64, vcc, s8, v30
	v_addc_co_u32_e32 v65, vcc, v29, v63, vcc
	s_waitcnt vmcnt(0)
	v_add_f64 v[66:67], v[38:39], -v[36:37]
	v_add_f64 v[68:69], -v[34:35], 1.0
	v_fmac_f64_e32 v[36:37], v[66:67], v[34:35]
	v_fma_f64 v[38:39], -v[66:67], v[68:69], v[38:39]
	v_cmp_lt_f64_e64 vcc, |v[34:35]|, 0.5
	v_cndmask_b32_e32 v35, v39, v37, vcc
	v_cndmask_b32_e32 v34, v38, v36, vcc
	global_store_dwordx2 v[64:65], v[34:35], off
	s_or_b64 exec, exec, s[6:7]
	s_and_saveexec_b64 s[6:7], s[0:1]
	s_cbranch_execz .LBB0_25
.LBB0_30:                               ;   in Loop: Header=BB0_9 Depth=1
	s_waitcnt vmcnt(0)
	v_add_f64 v[34:35], v[44:45], -v[42:43]
	v_add_f64 v[36:37], -v[40:41], 1.0
	v_fmac_f64_e32 v[42:43], v[34:35], v[40:41]
	v_fma_f64 v[34:35], -v[34:35], v[36:37], v[44:45]
	v_cmp_lt_f64_e64 vcc, |v[40:41]|, 0.5
	v_cndmask_b32_e32 v35, v35, v43, vcc
	v_cndmask_b32_e32 v34, v34, v42, vcc
	v_mov_b32_e32 v37, s9
	v_add_co_u32_e32 v36, vcc, s8, v32
	v_addc_co_u32_e32 v37, vcc, v31, v37, vcc
	global_store_dwordx2 v[36:37], v[34:35], off
	s_or_b64 exec, exec, s[6:7]
	s_and_saveexec_b64 s[0:1], s[2:3]
	s_cbranch_execz .LBB0_26
.LBB0_31:                               ;   in Loop: Header=BB0_9 Depth=1
	s_waitcnt vmcnt(0)
	v_add_f64 v[34:35], v[50:51], -v[48:49]
	v_add_f64 v[36:37], -v[46:47], 1.0
	v_fmac_f64_e32 v[48:49], v[34:35], v[46:47]
	v_fma_f64 v[34:35], -v[34:35], v[36:37], v[50:51]
	v_cmp_lt_f64_e64 vcc, |v[46:47]|, 0.5
	v_cndmask_b32_e32 v35, v35, v49, vcc
	v_cndmask_b32_e32 v34, v34, v48, vcc
	v_mov_b32_e32 v37, s9
	v_add_co_u32_e32 v36, vcc, s8, v20
	v_addc_co_u32_e32 v37, vcc, v19, v37, vcc
	global_store_dwordx2 v[36:37], v[34:35], off
	s_or_b64 exec, exec, s[0:1]
	s_and_saveexec_b64 s[0:1], s[4:5]
	s_cbranch_execz .LBB0_8
.LBB0_32:                               ;   in Loop: Header=BB0_9 Depth=1
	s_waitcnt vmcnt(0)
	v_add_f64 v[34:35], v[56:57], -v[54:55]
	v_add_f64 v[36:37], -v[52:53], 1.0
	v_fmac_f64_e32 v[54:55], v[34:35], v[52:53]
	v_fma_f64 v[34:35], -v[34:35], v[36:37], v[56:57]
	v_cmp_lt_f64_e64 vcc, |v[52:53]|, 0.5
	v_cndmask_b32_e32 v35, v35, v55, vcc
	v_cndmask_b32_e32 v34, v34, v54, vcc
	v_mov_b32_e32 v37, s9
	v_add_co_u32_e32 v36, vcc, s8, v12
	v_addc_co_u32_e32 v37, vcc, v11, v37, vcc
	global_store_dwordx2 v[36:37], v[34:35], off
	s_branch .LBB0_8
.LBB0_33:
	s_endpgm
	.section	.rodata,"a",@progbits
	.p2align	6, 0x0
	.amdhsa_kernel _ZN2at6native12_GLOBAL__N_125multi_tensor_apply_kernelINS1_18TensorListMetadataILi4EEENS1_20TernaryOpListFunctorIdLi4ELi3ELi3EEEJNS0_11LerpFunctorIdEEEEEvT_T0_DpT1_
		.amdhsa_group_segment_fixed_size 0
		.amdhsa_private_segment_fixed_size 0
		.amdhsa_kernarg_size 3312
		.amdhsa_user_sgpr_count 6
		.amdhsa_user_sgpr_private_segment_buffer 1
		.amdhsa_user_sgpr_dispatch_ptr 0
		.amdhsa_user_sgpr_queue_ptr 0
		.amdhsa_user_sgpr_kernarg_segment_ptr 1
		.amdhsa_user_sgpr_dispatch_id 0
		.amdhsa_user_sgpr_flat_scratch_init 0
		.amdhsa_user_sgpr_kernarg_preload_length 0
		.amdhsa_user_sgpr_kernarg_preload_offset 0
		.amdhsa_user_sgpr_private_segment_size 0
		.amdhsa_uses_dynamic_stack 0
		.amdhsa_system_sgpr_private_segment_wavefront_offset 0
		.amdhsa_system_sgpr_workgroup_id_x 1
		.amdhsa_system_sgpr_workgroup_id_y 0
		.amdhsa_system_sgpr_workgroup_id_z 0
		.amdhsa_system_sgpr_workgroup_info 0
		.amdhsa_system_vgpr_workitem_id 0
		.amdhsa_next_free_vgpr 70
		.amdhsa_next_free_sgpr 37
		.amdhsa_accum_offset 72
		.amdhsa_reserve_vcc 1
		.amdhsa_reserve_flat_scratch 0
		.amdhsa_float_round_mode_32 0
		.amdhsa_float_round_mode_16_64 0
		.amdhsa_float_denorm_mode_32 3
		.amdhsa_float_denorm_mode_16_64 3
		.amdhsa_dx10_clamp 1
		.amdhsa_ieee_mode 1
		.amdhsa_fp16_overflow 0
		.amdhsa_tg_split 0
		.amdhsa_exception_fp_ieee_invalid_op 0
		.amdhsa_exception_fp_denorm_src 0
		.amdhsa_exception_fp_ieee_div_zero 0
		.amdhsa_exception_fp_ieee_overflow 0
		.amdhsa_exception_fp_ieee_underflow 0
		.amdhsa_exception_fp_ieee_inexact 0
		.amdhsa_exception_int_div_zero 0
	.end_amdhsa_kernel
	.section	.text._ZN2at6native12_GLOBAL__N_125multi_tensor_apply_kernelINS1_18TensorListMetadataILi4EEENS1_20TernaryOpListFunctorIdLi4ELi3ELi3EEEJNS0_11LerpFunctorIdEEEEEvT_T0_DpT1_,"axG",@progbits,_ZN2at6native12_GLOBAL__N_125multi_tensor_apply_kernelINS1_18TensorListMetadataILi4EEENS1_20TernaryOpListFunctorIdLi4ELi3ELi3EEEJNS0_11LerpFunctorIdEEEEEvT_T0_DpT1_,comdat
.Lfunc_end0:
	.size	_ZN2at6native12_GLOBAL__N_125multi_tensor_apply_kernelINS1_18TensorListMetadataILi4EEENS1_20TernaryOpListFunctorIdLi4ELi3ELi3EEEJNS0_11LerpFunctorIdEEEEEvT_T0_DpT1_, .Lfunc_end0-_ZN2at6native12_GLOBAL__N_125multi_tensor_apply_kernelINS1_18TensorListMetadataILi4EEENS1_20TernaryOpListFunctorIdLi4ELi3ELi3EEEJNS0_11LerpFunctorIdEEEEEvT_T0_DpT1_
                                        ; -- End function
	.section	.AMDGPU.csdata,"",@progbits
; Kernel info:
; codeLenInByte = 2272
; NumSgprs: 41
; NumVgprs: 70
; NumAgprs: 0
; TotalNumVgprs: 70
; ScratchSize: 0
; MemoryBound: 0
; FloatMode: 240
; IeeeMode: 1
; LDSByteSize: 0 bytes/workgroup (compile time only)
; SGPRBlocks: 5
; VGPRBlocks: 8
; NumSGPRsForWavesPerEU: 41
; NumVGPRsForWavesPerEU: 70
; AccumOffset: 72
; Occupancy: 7
; WaveLimiterHint : 0
; COMPUTE_PGM_RSRC2:SCRATCH_EN: 0
; COMPUTE_PGM_RSRC2:USER_SGPR: 6
; COMPUTE_PGM_RSRC2:TRAP_HANDLER: 0
; COMPUTE_PGM_RSRC2:TGID_X_EN: 1
; COMPUTE_PGM_RSRC2:TGID_Y_EN: 0
; COMPUTE_PGM_RSRC2:TGID_Z_EN: 0
; COMPUTE_PGM_RSRC2:TIDIG_COMP_CNT: 0
; COMPUTE_PGM_RSRC3_GFX90A:ACCUM_OFFSET: 17
; COMPUTE_PGM_RSRC3_GFX90A:TG_SPLIT: 0
	.section	.text._ZN2at6native12_GLOBAL__N_125multi_tensor_apply_kernelINS1_18TensorListMetadataILi4EEENS1_20TernaryOpListFunctorIfLi4ELi3ELi3EEEJNS0_11LerpFunctorIfEEEEEvT_T0_DpT1_,"axG",@progbits,_ZN2at6native12_GLOBAL__N_125multi_tensor_apply_kernelINS1_18TensorListMetadataILi4EEENS1_20TernaryOpListFunctorIfLi4ELi3ELi3EEEJNS0_11LerpFunctorIfEEEEEvT_T0_DpT1_,comdat
	.globl	_ZN2at6native12_GLOBAL__N_125multi_tensor_apply_kernelINS1_18TensorListMetadataILi4EEENS1_20TernaryOpListFunctorIfLi4ELi3ELi3EEEJNS0_11LerpFunctorIfEEEEEvT_T0_DpT1_ ; -- Begin function _ZN2at6native12_GLOBAL__N_125multi_tensor_apply_kernelINS1_18TensorListMetadataILi4EEENS1_20TernaryOpListFunctorIfLi4ELi3ELi3EEEJNS0_11LerpFunctorIfEEEEEvT_T0_DpT1_
	.p2align	8
	.type	_ZN2at6native12_GLOBAL__N_125multi_tensor_apply_kernelINS1_18TensorListMetadataILi4EEENS1_20TernaryOpListFunctorIfLi4ELi3ELi3EEEJNS0_11LerpFunctorIfEEEEEvT_T0_DpT1_,@function
_ZN2at6native12_GLOBAL__N_125multi_tensor_apply_kernelINS1_18TensorListMetadataILi4EEENS1_20TernaryOpListFunctorIfLi4ELi3ELi3EEEJNS0_11LerpFunctorIfEEEEEvT_T0_DpT1_: ; @_ZN2at6native12_GLOBAL__N_125multi_tensor_apply_kernelINS1_18TensorListMetadataILi4EEENS1_20TernaryOpListFunctorIfLi4ELi3ELi3EEEJNS0_11LerpFunctorIfEEEEEvT_T0_DpT1_
; %bb.0:
	v_mov_b32_e32 v1, s6
	global_load_ubyte v1, v1, s[4:5] offset:1440
	s_add_u32 s0, s4, s6
	s_mul_hi_u32 s2, s6, 3
	s_mul_i32 s6, s6, 3
	s_addc_u32 s7, s5, 0
	s_add_u32 s6, s0, s6
	s_addc_u32 s7, s7, s2
	s_load_dword s6, s[6:7], 0x6e0
	s_mov_b32 s1, 0
	s_mov_b32 s3, s1
	s_mov_b32 s13, s1
	s_waitcnt lgkmcnt(0)
	s_ashr_i32 s7, s6, 31
	s_lshl_b64 s[8:9], s[6:7], 18
	s_waitcnt vmcnt(0)
	v_readfirstlane_b32 s0, v1
	s_lshl_b32 s0, s0, 3
	s_load_dwordx2 s[22:23], s[4:5], s0 offset:0x480
	s_load_dwordx2 s[14:15], s[4:5], s0 offset:0x0
	;; [unrolled: 1-line block ×5, first 2 shown]
	s_waitcnt lgkmcnt(0)
	s_and_b32 s0, s14, 15
	s_add_u32 s2, s20, s8
	s_and_b32 s2, s2, 15
	s_cmp_lg_u64 s[2:3], 0
	s_cselect_b64 s[2:3], -1, 0
	s_add_u32 s10, s18, s8
	s_or_b32 s10, s16, s10
	s_and_b32 s10, s10, 15
	s_cmp_lg_u32 s10, 0
	s_cselect_b64 s[10:11], -1, 0
	s_lshl_b64 s[6:7], s[6:7], 16
	s_or_b64 s[2:3], s[10:11], s[2:3]
	s_sub_u32 s10, s22, s6
	s_subb_u32 s11, s23, s7
	s_and_b32 s12, s22, 3
	s_or_b64 s[6:7], s[0:1], s[12:13]
	s_cmp_lg_u64 s[6:7], 0
	s_cselect_b64 s[6:7], -1, 0
	s_or_b64 s[2:3], s[2:3], s[6:7]
	s_andn2_b64 vcc, exec, s[2:3]
	s_mov_b64 s[2:3], -1
	s_cbranch_vccz .LBB1_5
; %bb.1:
	v_mov_b32_e32 v3, 0
	v_lshlrev_b32_e32 v2, 2, v0
	v_cmp_gt_i64_e32 vcc, s[10:11], v[2:3]
	s_and_saveexec_b64 s[12:13], vcc
	s_cbranch_execz .LBB1_4
; %bb.2:
	s_load_dword s0, s[4:5], 0xbfc
	v_lshlrev_b32_e32 v1, 4, v0
	v_mov_b32_e32 v5, s9
	v_add_co_u32_e32 v4, vcc, s8, v1
	s_waitcnt lgkmcnt(0)
	s_and_b32 s0, s0, 0xffff
	s_lshl_b32 s26, s0, 2
	s_add_u32 s27, s14, 8
	s_addc_u32 s2, s15, 0
	s_lshl_b32 s28, s0, 4
	s_add_u32 s29, s20, 8
	s_addc_u32 s3, s21, 0
	s_add_u32 s30, s18, 8
	s_addc_u32 s6, s19, 0
	v_add_lshl_u32 v2, v0, s0, 2
	v_addc_co_u32_e32 v1, vcc, 0, v5, vcc
	s_mov_b64 s[22:23], 0
	v_mov_b32_e32 v5, s2
	v_mov_b32_e32 v6, s3
	;; [unrolled: 1-line block ×4, first 2 shown]
	s_mov_b64 s[24:25], 0xffff
	v_mov_b32_e32 v9, s1
	v_mov_b32_e32 v10, s1
.LBB1_3:                                ; =>This Inner Loop Header: Depth=1
	v_add_co_u32_e32 v24, vcc, s27, v4
	v_addc_co_u32_e32 v25, vcc, v5, v1, vcc
	v_add_co_u32_e32 v26, vcc, s29, v4
	v_addc_co_u32_e32 v27, vcc, v6, v1, vcc
	;; [unrolled: 2-line block ×3, first 2 shown]
	global_load_dwordx4 v[12:15], v[24:25], off offset:-8
	global_load_dwordx4 v[16:19], v[26:27], off offset:-8
	;; [unrolled: 1-line block ×3, first 2 shown]
	v_add_co_u32_e32 v24, vcc, s16, v4
	v_addc_co_u32_e32 v25, vcc, v8, v1, vcc
	v_cmp_le_i64_e32 vcc, s[10:11], v[2:3]
	v_cmp_lt_u64_e64 s[0:1], s[24:25], v[2:3]
	v_add_co_u32_e64 v2, s[2:3], s26, v2
	v_addc_co_u32_e64 v3, s[2:3], v3, v9, s[2:3]
	v_add_co_u32_e64 v4, s[2:3], s28, v4
	s_or_b64 s[0:1], vcc, s[0:1]
	v_addc_co_u32_e64 v1, s[2:3], v1, v10, s[2:3]
	s_and_b64 s[0:1], exec, s[0:1]
	s_or_b64 s[22:23], s[0:1], s[22:23]
	s_waitcnt vmcnt(1)
	v_pk_add_f32 v[26:27], v[16:17], v[12:13] neg_lo:[0,1] neg_hi:[0,1]
	s_waitcnt vmcnt(0)
	v_pk_add_f32 v[28:29], v[20:21], 1.0 op_sel_hi:[1,0] neg_lo:[1,0] neg_hi:[1,0]
	v_pk_add_f32 v[30:31], v[18:19], v[14:15] neg_lo:[0,1] neg_hi:[0,1]
	v_pk_add_f32 v[32:33], v[22:23], 1.0 op_sel_hi:[1,0] neg_lo:[1,0] neg_hi:[1,0]
	v_pk_fma_f32 v[12:13], v[26:27], v[20:21], v[12:13]
	v_pk_fma_f32 v[16:17], v[26:27], v[28:29], v[16:17] neg_lo:[1,0,0] neg_hi:[1,0,0]
	v_cmp_lt_f32_e64 vcc, |v20|, 0.5
	v_pk_fma_f32 v[14:15], v[30:31], v[22:23], v[14:15]
	v_pk_fma_f32 v[18:19], v[30:31], v[32:33], v[18:19] neg_lo:[1,0,0] neg_hi:[1,0,0]
	v_cmp_lt_f32_e64 s[0:1], |v22|, 0.5
	v_cmp_lt_f32_e64 s[2:3], |v23|, 0.5
	;; [unrolled: 1-line block ×3, first 2 shown]
	v_cndmask_b32_e64 v13, v17, v13, s[6:7]
	v_cndmask_b32_e32 v12, v16, v12, vcc
	v_cndmask_b32_e64 v15, v19, v15, s[2:3]
	v_cndmask_b32_e64 v14, v18, v14, s[0:1]
	global_store_dwordx4 v[24:25], v[12:15], off
	s_andn2_b64 exec, exec, s[22:23]
	s_cbranch_execnz .LBB1_3
.LBB1_4:
	s_or_b64 exec, exec, s[12:13]
	s_mov_b64 s[2:3], 0
.LBB1_5:
	s_andn2_b64 vcc, exec, s[2:3]
	s_cbranch_vccnz .LBB1_33
; %bb.6:
	v_cmp_lt_i64_e64 s[0:1], s[10:11], 1
	s_and_b64 vcc, exec, s[0:1]
	s_cbranch_vccnz .LBB1_33
; %bb.7:
	s_load_dword s0, s[4:5], 0xbfc
	v_mov_b32_e32 v19, 0
	v_lshlrev_b32_e32 v18, 2, v0
	v_mov_b32_e32 v21, s15
	v_mov_b32_e32 v23, s21
	s_waitcnt lgkmcnt(0)
	s_and_b32 s4, s0, 0xffff
	v_mad_u64_u32 v[16:17], s[2:3], s4, 12, v[18:19]
	v_add_co_u32_e64 v10, s[2:3], s14, v16
	v_addc_co_u32_e64 v5, s[2:3], v21, v17, s[2:3]
	v_add_co_u32_e64 v12, s[2:3], s20, v16
	v_addc_co_u32_e64 v7, s[2:3], v23, v17, s[2:3]
	v_mov_b32_e32 v27, s19
	v_add_co_u32_e64 v14, s[2:3], s18, v16
	v_addc_co_u32_e64 v9, s[2:3], v27, v17, s[2:3]
	v_mov_b32_e32 v2, 0x10000
	v_mov_b32_e32 v31, s17
	v_add_co_u32_e64 v16, s[2:3], s16, v16
	v_mov_b32_e32 v3, 0
	s_mul_i32 s6, s4, 3
	v_addc_co_u32_e64 v11, s[2:3], v31, v17, s[2:3]
	v_cmp_lt_u64_e32 vcc, s[10:11], v[2:3]
	v_add_co_u32_e64 v33, s[2:3], s6, v0
	s_and_b64 s[0:1], vcc, exec
	v_add_co_u32_e32 v2, vcc, s14, v18
	v_addc_co_u32_e64 v38, s[2:3], 0, 0, s[2:3]
	s_cselect_b32 s13, s11, 0
	s_cselect_b32 s12, s10, 0x10000
	v_addc_co_u32_e32 v1, vcc, 0, v21, vcc
	s_lshl_b32 s2, s4, 3
	v_add_co_u32_e32 v4, vcc, s20, v18
	v_add_co_u32_e64 v19, s[2:3], s2, v18
	v_addc_co_u32_e32 v3, vcc, 0, v23, vcc
	v_addc_co_u32_e64 v25, s[2:3], 0, 0, s[2:3]
	v_add_co_u32_e32 v6, vcc, s18, v18
	v_add_co_u32_e64 v8, s[0:1], s16, v18
	v_add_co_u32_e64 v18, s[2:3], s14, v19
	v_addc_co_u32_e64 v13, s[2:3], v21, v25, s[2:3]
	v_add_co_u32_e64 v20, s[2:3], s20, v19
	v_addc_co_u32_e64 v15, s[2:3], v23, v25, s[2:3]
	;; [unrolled: 2-line block ×3, first 2 shown]
	v_add_co_u32_e64 v24, s[2:3], s16, v19
	s_lshl_b32 s5, s4, 1
	v_addc_co_u32_e64 v19, s[2:3], v31, v25, s[2:3]
	v_add_co_u32_e64 v39, s[2:3], s5, v0
	v_addc_co_u32_e64 v40, s[2:3], 0, 0, s[2:3]
	v_add_co_u32_e64 v41, s[2:3], s4, v0
	v_addc_co_u32_e64 v42, s[2:3], 0, 0, s[2:3]
	v_lshlrev_b32_e32 v29, 2, v41
	v_addc_co_u32_e32 v25, vcc, 0, v27, vcc
	v_add_co_u32_e64 v26, s[2:3], s14, v29
	v_add_co_u32_e32 v30, vcc, s18, v29
	v_addc_co_u32_e64 v21, s[2:3], 0, v21, s[2:3]
	v_addc_co_u32_e32 v27, vcc, 0, v27, vcc
	v_add_co_u32_e64 v28, s[2:3], s20, v29
	v_add_co_u32_e32 v32, vcc, s16, v29
	s_mov_b32 s22, 0
	s_lshl_b32 s23, s4, 2
	s_lshl_b32 s24, s4, 4
	s_mov_b64 s[14:15], 0
	v_addc_co_u32_e64 v23, s[2:3], 0, v23, s[2:3]
	v_addc_co_u32_e64 v29, s[0:1], 0, v31, s[0:1]
	v_addc_co_u32_e32 v31, vcc, 0, v31, vcc
	v_mov_b32_e32 v35, 1.0
	s_branch .LBB1_9
.LBB1_8:                                ;   in Loop: Header=BB1_9 Depth=1
	s_or_b64 exec, exec, s[0:1]
	s_waitcnt vmcnt(0)
	v_mov_b32_e32 v34, s22
	v_add_co_u32_e64 v2, s[2:3], s24, v2
	v_addc_co_u32_e64 v1, s[2:3], v1, v34, s[2:3]
	v_add_co_u32_e64 v4, s[2:3], s24, v4
	v_addc_co_u32_e64 v3, s[2:3], v3, v34, s[2:3]
	;; [unrolled: 2-line block ×12, first 2 shown]
	v_add_co_u32_e64 v26, s[2:3], s24, v26
	s_add_u32 s14, s14, s23
	v_addc_co_u32_e64 v21, s[2:3], v21, v34, s[2:3]
	s_addc_u32 s15, s15, 0
	v_pk_mov_b32 v[36:37], s[10:11], s[10:11] op_sel:[0,1]
	v_add_co_u32_e64 v28, s[2:3], s24, v28
	v_cmp_ge_i64_e32 vcc, s[14:15], v[36:37]
	v_mov_b32_e32 v36, 0xffff
	v_addc_co_u32_e64 v23, s[2:3], v23, v34, s[2:3]
	v_mov_b32_e32 v37, 0
	v_add_co_u32_e64 v30, s[2:3], s24, v30
	v_cmp_gt_u64_e64 s[0:1], s[14:15], v[36:37]
	v_addc_co_u32_e64 v27, s[2:3], v27, v34, s[2:3]
	v_add_co_u32_e64 v32, s[2:3], s24, v32
	s_or_b64 s[0:1], vcc, s[0:1]
	v_addc_co_u32_e64 v31, s[2:3], v31, v34, s[2:3]
	s_and_b64 vcc, exec, s[0:1]
	s_cbranch_vccnz .LBB1_33
.LBB1_9:                                ; =>This Inner Loop Header: Depth=1
	v_mov_b32_e32 v34, s15
	v_add_co_u32_e32 v36, vcc, s14, v0
	v_addc_co_u32_e32 v37, vcc, 0, v34, vcc
	v_cmp_gt_u64_e32 vcc, s[12:13], v[36:37]
	v_mov_b32_e32 v36, 0
	v_mov_b32_e32 v34, 0
	s_and_saveexec_b64 s[2:3], vcc
	s_cbranch_execz .LBB1_11
; %bb.10:                               ;   in Loop: Header=BB1_9 Depth=1
	v_mov_b32_e32 v34, s9
	v_add_co_u32_e64 v44, s[0:1], s8, v4
	v_addc_co_u32_e64 v45, s[0:1], v3, v34, s[0:1]
	v_add_co_u32_e64 v46, s[0:1], s8, v2
	v_addc_co_u32_e64 v47, s[0:1], v1, v34, s[0:1]
	global_load_dword v36, v[46:47], off
	global_load_dword v34, v[44:45], off
.LBB1_11:                               ;   in Loop: Header=BB1_9 Depth=1
	s_or_b64 exec, exec, s[2:3]
	v_mov_b32_e32 v43, 0
	v_mov_b32_e32 v37, 0
	s_and_saveexec_b64 s[2:3], vcc
	s_cbranch_execz .LBB1_13
; %bb.12:                               ;   in Loop: Header=BB1_9 Depth=1
	v_mov_b32_e32 v37, s9
	v_add_co_u32_e64 v44, s[0:1], s8, v6
	v_addc_co_u32_e64 v45, s[0:1], v25, v37, s[0:1]
	global_load_dword v37, v[44:45], off
.LBB1_13:                               ;   in Loop: Header=BB1_9 Depth=1
	s_or_b64 exec, exec, s[2:3]
	v_mov_b32_e32 v45, s15
	v_add_co_u32_e64 v44, s[0:1], s14, v41
	v_addc_co_u32_e64 v45, s[0:1], v42, v45, s[0:1]
	v_cmp_gt_u64_e64 s[0:1], s[12:13], v[44:45]
	v_mov_b32_e32 v44, 0
	s_and_saveexec_b64 s[4:5], s[0:1]
	s_cbranch_execz .LBB1_15
; %bb.14:                               ;   in Loop: Header=BB1_9 Depth=1
	v_mov_b32_e32 v43, s9
	v_add_co_u32_e64 v46, s[2:3], s8, v28
	v_addc_co_u32_e64 v47, s[2:3], v23, v43, s[2:3]
	v_add_co_u32_e64 v48, s[2:3], s8, v26
	v_addc_co_u32_e64 v49, s[2:3], v21, v43, s[2:3]
	global_load_dword v43, v[48:49], off
	global_load_dword v44, v[46:47], off
.LBB1_15:                               ;   in Loop: Header=BB1_9 Depth=1
	s_or_b64 exec, exec, s[4:5]
	v_mov_b32_e32 v45, 0
	v_mov_b32_e32 v46, 0
	s_and_saveexec_b64 s[4:5], s[0:1]
	s_cbranch_execz .LBB1_17
; %bb.16:                               ;   in Loop: Header=BB1_9 Depth=1
	v_mov_b32_e32 v47, s9
	v_add_co_u32_e64 v46, s[2:3], s8, v30
	v_addc_co_u32_e64 v47, s[2:3], v27, v47, s[2:3]
	global_load_dword v46, v[46:47], off
.LBB1_17:                               ;   in Loop: Header=BB1_9 Depth=1
	s_or_b64 exec, exec, s[4:5]
	v_mov_b32_e32 v47, s15
	v_add_co_u32_e64 v48, s[2:3], s14, v39
	v_addc_co_u32_e64 v49, s[2:3], v40, v47, s[2:3]
	v_cmp_gt_u64_e64 s[2:3], s[12:13], v[48:49]
	v_mov_b32_e32 v47, 0
	s_and_saveexec_b64 s[6:7], s[2:3]
	s_cbranch_execz .LBB1_19
; %bb.18:                               ;   in Loop: Header=BB1_9 Depth=1
	v_mov_b32_e32 v45, s9
	v_add_co_u32_e64 v48, s[4:5], s8, v20
	v_addc_co_u32_e64 v49, s[4:5], v15, v45, s[4:5]
	v_add_co_u32_e64 v50, s[4:5], s8, v18
	v_addc_co_u32_e64 v51, s[4:5], v13, v45, s[4:5]
	global_load_dword v45, v[50:51], off
	global_load_dword v47, v[48:49], off
.LBB1_19:                               ;   in Loop: Header=BB1_9 Depth=1
	s_or_b64 exec, exec, s[6:7]
	v_mov_b32_e32 v48, 0
	v_mov_b32_e32 v49, 0
	s_and_saveexec_b64 s[6:7], s[2:3]
	s_cbranch_execz .LBB1_21
; %bb.20:                               ;   in Loop: Header=BB1_9 Depth=1
	v_mov_b32_e32 v49, s9
	v_add_co_u32_e64 v50, s[4:5], s8, v22
	v_addc_co_u32_e64 v51, s[4:5], v17, v49, s[4:5]
	global_load_dword v49, v[50:51], off
.LBB1_21:                               ;   in Loop: Header=BB1_9 Depth=1
	s_or_b64 exec, exec, s[6:7]
	v_mov_b32_e32 v51, s15
	v_add_co_u32_e64 v50, s[4:5], s14, v33
	v_addc_co_u32_e64 v51, s[4:5], v38, v51, s[4:5]
	v_cmp_gt_u64_e64 s[4:5], s[12:13], v[50:51]
	v_mov_b32_e32 v50, 0
	s_and_saveexec_b64 s[16:17], s[4:5]
	s_cbranch_execnz .LBB1_27
; %bb.22:                               ;   in Loop: Header=BB1_9 Depth=1
	s_or_b64 exec, exec, s[16:17]
	v_mov_b32_e32 v51, 0
	s_and_saveexec_b64 s[16:17], s[4:5]
	s_cbranch_execnz .LBB1_28
.LBB1_23:                               ;   in Loop: Header=BB1_9 Depth=1
	s_or_b64 exec, exec, s[16:17]
	s_and_saveexec_b64 s[6:7], vcc
	s_cbranch_execnz .LBB1_29
.LBB1_24:                               ;   in Loop: Header=BB1_9 Depth=1
	s_or_b64 exec, exec, s[6:7]
	s_and_saveexec_b64 s[6:7], s[0:1]
	s_cbranch_execnz .LBB1_30
.LBB1_25:                               ;   in Loop: Header=BB1_9 Depth=1
	s_or_b64 exec, exec, s[6:7]
	s_and_saveexec_b64 s[0:1], s[2:3]
	s_cbranch_execnz .LBB1_31
.LBB1_26:                               ;   in Loop: Header=BB1_9 Depth=1
	s_or_b64 exec, exec, s[0:1]
	s_and_saveexec_b64 s[0:1], s[4:5]
	s_cbranch_execz .LBB1_8
	s_branch .LBB1_32
.LBB1_27:                               ;   in Loop: Header=BB1_9 Depth=1
	v_mov_b32_e32 v48, s9
	v_add_co_u32_e64 v52, s[6:7], s8, v12
	v_addc_co_u32_e64 v53, s[6:7], v7, v48, s[6:7]
	v_add_co_u32_e64 v54, s[6:7], s8, v10
	v_addc_co_u32_e64 v55, s[6:7], v5, v48, s[6:7]
	global_load_dword v48, v[54:55], off
	global_load_dword v50, v[52:53], off
	s_or_b64 exec, exec, s[16:17]
	v_mov_b32_e32 v51, 0
	s_and_saveexec_b64 s[16:17], s[4:5]
	s_cbranch_execz .LBB1_23
.LBB1_28:                               ;   in Loop: Header=BB1_9 Depth=1
	v_mov_b32_e32 v51, s9
	v_add_co_u32_e64 v52, s[6:7], s8, v14
	v_addc_co_u32_e64 v53, s[6:7], v9, v51, s[6:7]
	global_load_dword v51, v[52:53], off
	s_or_b64 exec, exec, s[16:17]
	s_and_saveexec_b64 s[6:7], vcc
	s_cbranch_execz .LBB1_24
.LBB1_29:                               ;   in Loop: Header=BB1_9 Depth=1
	v_mov_b32_e32 v53, s9
	v_add_co_u32_e32 v52, vcc, s8, v8
	v_addc_co_u32_e32 v53, vcc, v29, v53, vcc
	s_waitcnt vmcnt(0)
	v_pk_add_f32 v[54:55], v[34:35], v[36:37] neg_lo:[0,1] neg_hi:[0,1]
	v_fmac_f32_e32 v36, v54, v37
	v_fma_f32 v34, -v54, v55, v34
	v_cmp_lt_f32_e64 vcc, |v37|, 0.5
	v_cndmask_b32_e32 v34, v34, v36, vcc
	global_store_dword v[52:53], v34, off
	s_or_b64 exec, exec, s[6:7]
	s_and_saveexec_b64 s[6:7], s[0:1]
	s_cbranch_execz .LBB1_25
.LBB1_30:                               ;   in Loop: Header=BB1_9 Depth=1
	s_waitcnt vmcnt(0)
	v_sub_f32_e32 v34, v44, v43
	v_sub_f32_e32 v36, 1.0, v46
	v_fmac_f32_e32 v43, v34, v46
	v_fma_f32 v34, -v34, v36, v44
	v_cmp_lt_f32_e64 vcc, |v46|, 0.5
	v_cndmask_b32_e32 v34, v34, v43, vcc
	v_mov_b32_e32 v37, s9
	v_add_co_u32_e32 v36, vcc, s8, v32
	v_addc_co_u32_e32 v37, vcc, v31, v37, vcc
	global_store_dword v[36:37], v34, off
	s_or_b64 exec, exec, s[6:7]
	s_and_saveexec_b64 s[0:1], s[2:3]
	s_cbranch_execz .LBB1_26
.LBB1_31:                               ;   in Loop: Header=BB1_9 Depth=1
	s_waitcnt vmcnt(0)
	v_sub_f32_e32 v34, v47, v45
	v_sub_f32_e32 v36, 1.0, v49
	v_fmac_f32_e32 v45, v34, v49
	v_fma_f32 v34, -v34, v36, v47
	v_cmp_lt_f32_e64 vcc, |v49|, 0.5
	v_cndmask_b32_e32 v34, v34, v45, vcc
	v_mov_b32_e32 v37, s9
	v_add_co_u32_e32 v36, vcc, s8, v24
	v_addc_co_u32_e32 v37, vcc, v19, v37, vcc
	global_store_dword v[36:37], v34, off
	s_or_b64 exec, exec, s[0:1]
	s_and_saveexec_b64 s[0:1], s[4:5]
	s_cbranch_execz .LBB1_8
.LBB1_32:                               ;   in Loop: Header=BB1_9 Depth=1
	s_waitcnt vmcnt(0)
	v_sub_f32_e32 v34, v50, v48
	v_sub_f32_e32 v36, 1.0, v51
	v_fmac_f32_e32 v48, v34, v51
	v_fma_f32 v34, -v34, v36, v50
	v_cmp_lt_f32_e64 vcc, |v51|, 0.5
	v_cndmask_b32_e32 v34, v34, v48, vcc
	v_mov_b32_e32 v37, s9
	v_add_co_u32_e32 v36, vcc, s8, v16
	v_addc_co_u32_e32 v37, vcc, v11, v37, vcc
	global_store_dword v[36:37], v34, off
	s_branch .LBB1_8
.LBB1_33:
	s_endpgm
	.section	.rodata,"a",@progbits
	.p2align	6, 0x0
	.amdhsa_kernel _ZN2at6native12_GLOBAL__N_125multi_tensor_apply_kernelINS1_18TensorListMetadataILi4EEENS1_20TernaryOpListFunctorIfLi4ELi3ELi3EEEJNS0_11LerpFunctorIfEEEEEvT_T0_DpT1_
		.amdhsa_group_segment_fixed_size 0
		.amdhsa_private_segment_fixed_size 0
		.amdhsa_kernarg_size 3312
		.amdhsa_user_sgpr_count 6
		.amdhsa_user_sgpr_private_segment_buffer 1
		.amdhsa_user_sgpr_dispatch_ptr 0
		.amdhsa_user_sgpr_queue_ptr 0
		.amdhsa_user_sgpr_kernarg_segment_ptr 1
		.amdhsa_user_sgpr_dispatch_id 0
		.amdhsa_user_sgpr_flat_scratch_init 0
		.amdhsa_user_sgpr_kernarg_preload_length 0
		.amdhsa_user_sgpr_kernarg_preload_offset 0
		.amdhsa_user_sgpr_private_segment_size 0
		.amdhsa_uses_dynamic_stack 0
		.amdhsa_system_sgpr_private_segment_wavefront_offset 0
		.amdhsa_system_sgpr_workgroup_id_x 1
		.amdhsa_system_sgpr_workgroup_id_y 0
		.amdhsa_system_sgpr_workgroup_id_z 0
		.amdhsa_system_sgpr_workgroup_info 0
		.amdhsa_system_vgpr_workitem_id 0
		.amdhsa_next_free_vgpr 56
		.amdhsa_next_free_sgpr 31
		.amdhsa_accum_offset 56
		.amdhsa_reserve_vcc 1
		.amdhsa_reserve_flat_scratch 0
		.amdhsa_float_round_mode_32 0
		.amdhsa_float_round_mode_16_64 0
		.amdhsa_float_denorm_mode_32 3
		.amdhsa_float_denorm_mode_16_64 3
		.amdhsa_dx10_clamp 1
		.amdhsa_ieee_mode 1
		.amdhsa_fp16_overflow 0
		.amdhsa_tg_split 0
		.amdhsa_exception_fp_ieee_invalid_op 0
		.amdhsa_exception_fp_denorm_src 0
		.amdhsa_exception_fp_ieee_div_zero 0
		.amdhsa_exception_fp_ieee_overflow 0
		.amdhsa_exception_fp_ieee_underflow 0
		.amdhsa_exception_fp_ieee_inexact 0
		.amdhsa_exception_int_div_zero 0
	.end_amdhsa_kernel
	.section	.text._ZN2at6native12_GLOBAL__N_125multi_tensor_apply_kernelINS1_18TensorListMetadataILi4EEENS1_20TernaryOpListFunctorIfLi4ELi3ELi3EEEJNS0_11LerpFunctorIfEEEEEvT_T0_DpT1_,"axG",@progbits,_ZN2at6native12_GLOBAL__N_125multi_tensor_apply_kernelINS1_18TensorListMetadataILi4EEENS1_20TernaryOpListFunctorIfLi4ELi3ELi3EEEJNS0_11LerpFunctorIfEEEEEvT_T0_DpT1_,comdat
.Lfunc_end1:
	.size	_ZN2at6native12_GLOBAL__N_125multi_tensor_apply_kernelINS1_18TensorListMetadataILi4EEENS1_20TernaryOpListFunctorIfLi4ELi3ELi3EEEJNS0_11LerpFunctorIfEEEEEvT_T0_DpT1_, .Lfunc_end1-_ZN2at6native12_GLOBAL__N_125multi_tensor_apply_kernelINS1_18TensorListMetadataILi4EEENS1_20TernaryOpListFunctorIfLi4ELi3ELi3EEEJNS0_11LerpFunctorIfEEEEEvT_T0_DpT1_
                                        ; -- End function
	.section	.AMDGPU.csdata,"",@progbits
; Kernel info:
; codeLenInByte = 2268
; NumSgprs: 35
; NumVgprs: 56
; NumAgprs: 0
; TotalNumVgprs: 56
; ScratchSize: 0
; MemoryBound: 0
; FloatMode: 240
; IeeeMode: 1
; LDSByteSize: 0 bytes/workgroup (compile time only)
; SGPRBlocks: 4
; VGPRBlocks: 6
; NumSGPRsForWavesPerEU: 35
; NumVGPRsForWavesPerEU: 56
; AccumOffset: 56
; Occupancy: 8
; WaveLimiterHint : 0
; COMPUTE_PGM_RSRC2:SCRATCH_EN: 0
; COMPUTE_PGM_RSRC2:USER_SGPR: 6
; COMPUTE_PGM_RSRC2:TRAP_HANDLER: 0
; COMPUTE_PGM_RSRC2:TGID_X_EN: 1
; COMPUTE_PGM_RSRC2:TGID_Y_EN: 0
; COMPUTE_PGM_RSRC2:TGID_Z_EN: 0
; COMPUTE_PGM_RSRC2:TIDIG_COMP_CNT: 0
; COMPUTE_PGM_RSRC3_GFX90A:ACCUM_OFFSET: 13
; COMPUTE_PGM_RSRC3_GFX90A:TG_SPLIT: 0
	.section	.text._ZN2at6native12_GLOBAL__N_125multi_tensor_apply_kernelINS1_18TensorListMetadataILi4EEENS1_20TernaryOpListFunctorIN3c107complexIdEELi4ELi3ELi3EEEJNS0_11LerpFunctorIS8_EEEEEvT_T0_DpT1_,"axG",@progbits,_ZN2at6native12_GLOBAL__N_125multi_tensor_apply_kernelINS1_18TensorListMetadataILi4EEENS1_20TernaryOpListFunctorIN3c107complexIdEELi4ELi3ELi3EEEJNS0_11LerpFunctorIS8_EEEEEvT_T0_DpT1_,comdat
	.globl	_ZN2at6native12_GLOBAL__N_125multi_tensor_apply_kernelINS1_18TensorListMetadataILi4EEENS1_20TernaryOpListFunctorIN3c107complexIdEELi4ELi3ELi3EEEJNS0_11LerpFunctorIS8_EEEEEvT_T0_DpT1_ ; -- Begin function _ZN2at6native12_GLOBAL__N_125multi_tensor_apply_kernelINS1_18TensorListMetadataILi4EEENS1_20TernaryOpListFunctorIN3c107complexIdEELi4ELi3ELi3EEEJNS0_11LerpFunctorIS8_EEEEEvT_T0_DpT1_
	.p2align	8
	.type	_ZN2at6native12_GLOBAL__N_125multi_tensor_apply_kernelINS1_18TensorListMetadataILi4EEENS1_20TernaryOpListFunctorIN3c107complexIdEELi4ELi3ELi3EEEJNS0_11LerpFunctorIS8_EEEEEvT_T0_DpT1_,@function
_ZN2at6native12_GLOBAL__N_125multi_tensor_apply_kernelINS1_18TensorListMetadataILi4EEENS1_20TernaryOpListFunctorIN3c107complexIdEELi4ELi3ELi3EEEJNS0_11LerpFunctorIS8_EEEEEvT_T0_DpT1_: ; @_ZN2at6native12_GLOBAL__N_125multi_tensor_apply_kernelINS1_18TensorListMetadataILi4EEENS1_20TernaryOpListFunctorIN3c107complexIdEELi4ELi3ELi3EEEJNS0_11LerpFunctorIS8_EEEEEvT_T0_DpT1_
; %bb.0:
	v_mov_b32_e32 v1, s6
	global_load_ubyte v1, v1, s[4:5] offset:1440
	s_add_u32 s0, s4, s6
	s_mul_hi_u32 s1, s6, 3
	s_mul_i32 s6, s6, 3
	s_addc_u32 s2, s5, 0
	s_add_u32 s0, s0, s6
	s_addc_u32 s1, s2, s1
	s_load_dword s0, s[0:1], 0x6e0
	s_mov_b32 s13, 0
	s_mov_b32 s15, s13
	s_waitcnt vmcnt(0)
	v_readfirstlane_b32 s1, v1
	s_lshl_b32 s8, s1, 3
	s_load_dwordx2 s[20:21], s[4:5], s8 offset:0x480
	s_waitcnt lgkmcnt(0)
	s_ashr_i32 s1, s0, 31
	s_load_dwordx2 s[6:7], s[4:5], s8 offset:0x0
	s_load_dwordx2 s[2:3], s[4:5], s8 offset:0x120
	;; [unrolled: 1-line block ×4, first 2 shown]
	s_lshl_b64 s[8:9], s[0:1], 20
	s_waitcnt lgkmcnt(0)
	s_add_u32 s26, s6, s8
	s_addc_u32 s27, s7, s9
	s_add_u32 s28, s2, s8
	s_addc_u32 s29, s3, s9
	s_and_b32 s12, s28, 63
	s_add_u32 s30, s16, s8
	s_addc_u32 s31, s17, s9
	s_add_u32 s33, s18, s8
	s_addc_u32 s34, s19, s9
	s_or_b32 s10, s33, s30
	s_and_b32 s10, s10, 63
	s_cmp_lg_u32 s10, 0
	s_cselect_b64 s[10:11], -1, 0
	s_lshl_b64 s[0:1], s[0:1], 16
	s_and_b32 s14, s26, 63
	s_cmp_lg_u64 s[12:13], 0
	s_cselect_b64 s[22:23], -1, 0
	s_or_b64 s[22:23], s[10:11], s[22:23]
	s_sub_u32 s10, s20, s0
	s_subb_u32 s11, s21, s1
	s_and_b32 s12, s20, 3
	s_or_b64 s[0:1], s[14:15], s[12:13]
	s_cmp_lg_u64 s[0:1], 0
	s_cselect_b64 s[0:1], -1, 0
	s_or_b64 s[0:1], s[22:23], s[0:1]
	s_andn2_b64 vcc, exec, s[0:1]
	s_mov_b64 s[0:1], -1
	s_cbranch_vccz .LBB2_21
; %bb.1:
	v_mov_b32_e32 v55, 0
	v_lshlrev_b32_e32 v54, 2, v0
	v_cmp_gt_i64_e32 vcc, s[10:11], v[54:55]
	s_and_saveexec_b64 s[14:15], vcc
	s_cbranch_execz .LBB2_20
; %bb.2:
	s_load_dword s0, s[4:5], 0xbfc
	s_mov_b32 s22, 0
	v_lshlrev_b32_e32 v56, 6, v0
	s_mov_b64 s[20:21], 0
	s_mov_b32 s23, 0x3fd00000
	s_waitcnt lgkmcnt(0)
	s_and_b32 s0, s0, 0xffff
	v_add_lshl_u32 v54, v0, s0, 2
	s_lshl_b32 s12, s0, 2
	s_lshl_b32 s35, s0, 6
	s_mov_b64 s[24:25], 0xffff
	s_branch .LBB2_4
.LBB2_3:                                ;   in Loop: Header=BB2_4 Depth=1
	s_or_b64 exec, exec, s[0:1]
	v_mov_b32_e32 v1, s34
	v_add_co_u32_e32 v2, vcc, s33, v56
	v_addc_co_u32_e32 v3, vcc, 0, v1, vcc
	v_cmp_le_i64_e32 vcc, s[10:11], v[54:55]
	v_cmp_lt_u64_e64 s[0:1], s[24:25], v[54:55]
	s_or_b64 s[0:1], vcc, s[0:1]
	s_add_u32 s26, s26, s35
	s_addc_u32 s27, s27, 0
	s_add_u32 s33, s33, s35
	s_addc_u32 s34, s34, 0
	s_add_u32 s28, s28, s35
	s_addc_u32 s29, s29, 0
	s_add_u32 s30, s30, s35
	s_addc_u32 s31, s31, 0
	v_mov_b32_e32 v1, s13
	s_and_b64 s[0:1], exec, s[0:1]
	v_add_co_u32_e32 v54, vcc, s12, v54
	s_or_b64 s[20:21], s[0:1], s[20:21]
	v_addc_co_u32_e32 v55, vcc, v55, v1, vcc
	global_store_dwordx4 v[2:3], v[10:13], off
	global_store_dwordx4 v[2:3], v[22:25], off offset:16
	global_store_dwordx4 v[2:3], v[34:37], off offset:32
	;; [unrolled: 1-line block ×3, first 2 shown]
	s_andn2_b64 exec, exec, s[20:21]
	s_cbranch_execz .LBB2_20
.LBB2_4:                                ; =>This Inner Loop Header: Depth=1
	v_mov_b32_e32 v1, s27
	v_add_co_u32_e32 v6, vcc, s26, v56
	v_addc_co_u32_e32 v7, vcc, 0, v1, vcc
	global_load_dwordx4 v[2:5], v[6:7], off offset:48
	global_load_dwordx4 v[18:21], v[6:7], off offset:32
	;; [unrolled: 1-line block ×3, first 2 shown]
	global_load_dwordx4 v[22:25], v[6:7], off
	v_mov_b32_e32 v1, s29
	v_add_co_u32_e32 v10, vcc, s28, v56
	v_addc_co_u32_e32 v11, vcc, 0, v1, vcc
	v_mov_b32_e32 v1, s31
	v_add_co_u32_e32 v12, vcc, s30, v56
	v_addc_co_u32_e32 v13, vcc, 0, v1, vcc
	global_load_dwordx4 v[38:41], v[12:13], off offset:16
	global_load_dwordx4 v[46:49], v[12:13], off
	global_load_dwordx4 v[42:45], v[10:11], off offset:16
	global_load_dwordx4 v[50:53], v[10:11], off
	global_load_dwordx4 v[14:17], v[10:11], off offset:48
	global_load_dwordx4 v[30:33], v[10:11], off offset:32
	;; [unrolled: 1-line block ×4, first 2 shown]
                                        ; implicit-def: $vgpr12_vgpr13
	s_waitcnt vmcnt(6)
	v_mul_f64 v[10:11], v[48:49], v[48:49]
	v_fmac_f64_e32 v[10:11], v[46:47], v[46:47]
	s_waitcnt vmcnt(4)
	v_add_f64 v[60:61], v[50:51], -v[22:23]
	v_cmp_ngt_f64_e32 vcc, s[22:23], v[10:11]
	v_add_f64 v[58:59], v[52:53], -v[24:25]
	s_and_saveexec_b64 s[0:1], vcc
	s_xor_b64 s[0:1], exec, s[0:1]
; %bb.5:                                ;   in Loop: Header=BB2_4 Depth=1
	v_add_f64 v[12:13], -v[48:49], 0
	v_add_f64 v[10:11], -v[46:47], 1.0
	v_mul_f64 v[22:23], v[58:59], v[12:13]
	v_mul_f64 v[12:13], v[60:61], v[12:13]
	v_fma_f64 v[22:23], v[60:61], v[10:11], -v[22:23]
	v_fmac_f64_e32 v[12:13], v[58:59], v[10:11]
	v_add_f64 v[10:11], v[50:51], -v[22:23]
	v_add_f64 v[12:13], v[52:53], -v[12:13]
                                        ; implicit-def: $vgpr58_vgpr59
                                        ; implicit-def: $vgpr48_vgpr49
                                        ; implicit-def: $vgpr60_vgpr61
                                        ; implicit-def: $vgpr22_vgpr23
; %bb.6:                                ;   in Loop: Header=BB2_4 Depth=1
	s_andn2_saveexec_b64 s[0:1], s[0:1]
; %bb.7:                                ;   in Loop: Header=BB2_4 Depth=1
	v_mul_f64 v[10:11], v[58:59], v[48:49]
	v_mul_f64 v[12:13], v[60:61], v[48:49]
	v_fma_f64 v[10:11], v[60:61], v[46:47], -v[10:11]
	v_fmac_f64_e32 v[12:13], v[58:59], v[46:47]
	v_add_f64 v[10:11], v[22:23], v[10:11]
	v_add_f64 v[12:13], v[24:25], v[12:13]
; %bb.8:                                ;   in Loop: Header=BB2_4 Depth=1
	s_or_b64 exec, exec, s[0:1]
	v_mul_f64 v[22:23], v[40:41], v[40:41]
	v_fmac_f64_e32 v[22:23], v[38:39], v[38:39]
	v_cmp_ngt_f64_e32 vcc, s[22:23], v[22:23]
	v_add_f64 v[48:49], v[42:43], -v[34:35]
	v_add_f64 v[46:47], v[44:45], -v[36:37]
                                        ; implicit-def: $vgpr24_vgpr25
	s_and_saveexec_b64 s[0:1], vcc
	s_xor_b64 s[0:1], exec, s[0:1]
; %bb.9:                                ;   in Loop: Header=BB2_4 Depth=1
	v_add_f64 v[24:25], -v[40:41], 0
	v_add_f64 v[22:23], -v[38:39], 1.0
	v_mul_f64 v[34:35], v[46:47], v[24:25]
	v_mul_f64 v[24:25], v[48:49], v[24:25]
	v_fma_f64 v[34:35], v[48:49], v[22:23], -v[34:35]
	v_fmac_f64_e32 v[24:25], v[46:47], v[22:23]
	v_add_f64 v[22:23], v[42:43], -v[34:35]
	v_add_f64 v[24:25], v[44:45], -v[24:25]
                                        ; implicit-def: $vgpr46_vgpr47
                                        ; implicit-def: $vgpr40_vgpr41
                                        ; implicit-def: $vgpr48_vgpr49
                                        ; implicit-def: $vgpr34_vgpr35
; %bb.10:                               ;   in Loop: Header=BB2_4 Depth=1
	s_andn2_saveexec_b64 s[0:1], s[0:1]
; %bb.11:                               ;   in Loop: Header=BB2_4 Depth=1
	v_mul_f64 v[22:23], v[46:47], v[40:41]
	v_mul_f64 v[24:25], v[48:49], v[40:41]
	v_fma_f64 v[22:23], v[48:49], v[38:39], -v[22:23]
	v_fmac_f64_e32 v[24:25], v[46:47], v[38:39]
	v_add_f64 v[22:23], v[34:35], v[22:23]
	v_add_f64 v[24:25], v[36:37], v[24:25]
; %bb.12:                               ;   in Loop: Header=BB2_4 Depth=1
	s_or_b64 exec, exec, s[0:1]
	s_waitcnt vmcnt(0)
	v_mul_f64 v[34:35], v[28:29], v[28:29]
	v_fmac_f64_e32 v[34:35], v[26:27], v[26:27]
	v_cmp_ngt_f64_e32 vcc, s[22:23], v[34:35]
	v_add_f64 v[40:41], v[30:31], -v[18:19]
	v_add_f64 v[38:39], v[32:33], -v[20:21]
                                        ; implicit-def: $vgpr36_vgpr37
	s_and_saveexec_b64 s[0:1], vcc
	s_xor_b64 s[0:1], exec, s[0:1]
; %bb.13:                               ;   in Loop: Header=BB2_4 Depth=1
	v_add_f64 v[20:21], -v[28:29], 0
	v_add_f64 v[18:19], -v[26:27], 1.0
	v_mul_f64 v[26:27], v[38:39], v[20:21]
	v_mul_f64 v[20:21], v[40:41], v[20:21]
	v_fma_f64 v[26:27], v[40:41], v[18:19], -v[26:27]
	v_fmac_f64_e32 v[20:21], v[38:39], v[18:19]
	v_add_f64 v[34:35], v[30:31], -v[26:27]
	v_add_f64 v[36:37], v[32:33], -v[20:21]
                                        ; implicit-def: $vgpr38_vgpr39
                                        ; implicit-def: $vgpr28_vgpr29
                                        ; implicit-def: $vgpr40_vgpr41
                                        ; implicit-def: $vgpr18_vgpr19
; %bb.14:                               ;   in Loop: Header=BB2_4 Depth=1
	s_andn2_saveexec_b64 s[0:1], s[0:1]
; %bb.15:                               ;   in Loop: Header=BB2_4 Depth=1
	v_mul_f64 v[30:31], v[38:39], v[28:29]
	v_mul_f64 v[28:29], v[40:41], v[28:29]
	v_fma_f64 v[30:31], v[40:41], v[26:27], -v[30:31]
	v_fmac_f64_e32 v[28:29], v[38:39], v[26:27]
	v_add_f64 v[34:35], v[18:19], v[30:31]
	v_add_f64 v[36:37], v[20:21], v[28:29]
; %bb.16:                               ;   in Loop: Header=BB2_4 Depth=1
	s_or_b64 exec, exec, s[0:1]
	v_mul_f64 v[18:19], v[8:9], v[8:9]
	v_fmac_f64_e32 v[18:19], v[6:7], v[6:7]
	v_cmp_ngt_f64_e32 vcc, s[22:23], v[18:19]
	v_add_f64 v[28:29], v[14:15], -v[2:3]
	v_add_f64 v[26:27], v[16:17], -v[4:5]
                                        ; implicit-def: $vgpr20_vgpr21
	s_and_saveexec_b64 s[0:1], vcc
	s_xor_b64 s[0:1], exec, s[0:1]
; %bb.17:                               ;   in Loop: Header=BB2_4 Depth=1
	v_add_f64 v[4:5], -v[8:9], 0
	v_add_f64 v[2:3], -v[6:7], 1.0
	v_mul_f64 v[6:7], v[26:27], v[4:5]
	v_mul_f64 v[4:5], v[28:29], v[4:5]
	v_fma_f64 v[6:7], v[28:29], v[2:3], -v[6:7]
	v_fmac_f64_e32 v[4:5], v[26:27], v[2:3]
	v_add_f64 v[18:19], v[14:15], -v[6:7]
	v_add_f64 v[20:21], v[16:17], -v[4:5]
                                        ; implicit-def: $vgpr26_vgpr27
                                        ; implicit-def: $vgpr8_vgpr9
                                        ; implicit-def: $vgpr28_vgpr29
                                        ; implicit-def: $vgpr2_vgpr3
; %bb.18:                               ;   in Loop: Header=BB2_4 Depth=1
	s_andn2_saveexec_b64 s[0:1], s[0:1]
	s_cbranch_execz .LBB2_3
; %bb.19:                               ;   in Loop: Header=BB2_4 Depth=1
	v_mul_f64 v[14:15], v[26:27], v[8:9]
	v_mul_f64 v[8:9], v[28:29], v[8:9]
	v_fma_f64 v[14:15], v[28:29], v[6:7], -v[14:15]
	v_fmac_f64_e32 v[8:9], v[26:27], v[6:7]
	v_add_f64 v[18:19], v[2:3], v[14:15]
	v_add_f64 v[20:21], v[4:5], v[8:9]
	s_branch .LBB2_3
.LBB2_20:
	s_or_b64 exec, exec, s[14:15]
	s_mov_b64 s[0:1], 0
.LBB2_21:
	s_andn2_b64 vcc, exec, s[0:1]
	s_cbranch_vccnz .LBB2_65
; %bb.22:
	v_cmp_lt_i64_e64 s[0:1], s[10:11], 1
	s_and_b64 vcc, exec, s[0:1]
	s_cbranch_vccnz .LBB2_65
; %bb.23:
	s_load_dword s0, s[4:5], 0xbfc
	v_mov_b32_e32 v2, 0x10000
	v_mov_b32_e32 v3, 0
	v_lshlrev_b32_e32 v6, 4, v0
	v_cmp_lt_u64_e32 vcc, s[10:11], v[2:3]
	s_waitcnt lgkmcnt(0)
	s_and_b32 s23, s0, 0xffff
	v_or_b32_e32 v2, 8, v6
	s_and_b64 s[0:1], vcc, exec
	v_mov_b32_e32 v8, s7
	v_add_co_u32_e32 v54, vcc, s6, v2
	v_addc_co_u32_e32 v55, vcc, 0, v8, vcc
	v_add_lshl_u32 v9, v0, s23, 4
	v_mov_b32_e32 v10, s19
	v_add_co_u32_e32 v56, vcc, s18, v9
	v_addc_co_u32_e32 v57, vcc, 0, v10, vcc
	v_mov_b32_e32 v11, s17
	v_add_co_u32_e32 v58, vcc, s16, v2
	v_addc_co_u32_e32 v59, vcc, 0, v11, vcc
	v_add_co_u32_e32 v60, vcc, s16, v9
	v_addc_co_u32_e32 v61, vcc, 0, v11, vcc
	v_add_co_u32_e32 v62, vcc, s18, v2
	v_mov_b32_e32 v1, 0
	v_addc_co_u32_e32 v63, vcc, 0, v10, vcc
	v_mov_b32_e32 v3, v1
	v_add_co_u32_e32 v64, vcc, s6, v9
	v_addc_co_u32_e32 v65, vcc, 0, v8, vcc
	v_mad_u64_u32 v[4:5], s[0:1], s23, 48, v[2:3]
	v_mov_b32_e32 v7, s3
	v_add_co_u32_e32 v66, vcc, s2, v4
	v_addc_co_u32_e32 v67, vcc, v7, v5, vcc
	v_add_co_u32_e32 v68, vcc, s6, v4
	v_addc_co_u32_e32 v69, vcc, v8, v5, vcc
	v_add_co_u32_e32 v70, vcc, s16, v4
	s_cselect_b32 s13, s11, 0
	s_cselect_b32 s12, s10, 0x10000
	v_addc_co_u32_e32 v71, vcc, v11, v5, vcc
	s_lshl_b32 s0, s23, 5
	v_add_co_u32_e32 v3, vcc, s0, v6
	v_addc_co_u32_e64 v6, s[0:1], 0, 0, vcc
	v_add_co_u32_e32 v72, vcc, s18, v3
	v_addc_co_u32_e32 v73, vcc, v10, v6, vcc
	v_add_co_u32_e32 v74, vcc, s18, v4
	v_addc_co_u32_e32 v75, vcc, v10, v5, vcc
	;; [unrolled: 2-line block ×3, first 2 shown]
	v_or_b32_e32 v3, 8, v3
	v_add_co_u32_e32 v78, vcc, s6, v3
	v_addc_co_u32_e32 v79, vcc, v8, v6, vcc
	v_add_co_u32_e32 v80, vcc, s2, v3
	v_addc_co_u32_e32 v81, vcc, v7, v6, vcc
	v_add_co_u32_e32 v82, vcc, s2, v2
	s_mov_b32 s22, 0
	v_addc_co_u32_e32 v83, vcc, 0, v7, vcc
	s_lshl_b32 s14, s23, 2
	s_mov_b32 s15, s22
	s_mov_b32 s16, 0
	v_add_co_u32_e32 v84, vcc, s2, v9
	s_lshl_b32 s24, s23, 1
	s_mov_b32 s25, s22
	s_mul_i32 s26, s23, 3
	s_mov_b32 s27, s22
	s_lshl_b32 s28, s23, 6
	s_mov_b32 s29, s22
	s_mov_b32 s17, 0x3fd00000
	s_mov_b64 s[18:19], s[14:15]
	v_addc_co_u32_e32 v85, vcc, 0, v7, vcc
	s_branch .LBB2_25
.LBB2_24:                               ;   in Loop: Header=BB2_25 Depth=1
	s_or_b64 exec, exec, s[0:1]
	v_pk_mov_b32 v[2:3], s[10:11], s[10:11] op_sel:[0,1]
	v_cmp_ge_i64_e32 vcc, s[18:19], v[2:3]
	v_mov_b32_e32 v2, 0xffff
	v_mov_b32_e32 v3, 0
	v_cmp_gt_u64_e64 s[0:1], s[18:19], v[2:3]
	s_or_b64 s[0:1], vcc, s[0:1]
	v_mov_b32_e32 v2, s15
	v_add_co_u32_e32 v0, vcc, s14, v0
	v_addc_co_u32_e32 v1, vcc, v1, v2, vcc
	v_mov_b32_e32 v2, s29
	v_add_co_u32_e32 v82, vcc, s28, v82
	v_addc_co_u32_e32 v83, vcc, v83, v2, vcc
	v_add_co_u32_e32 v54, vcc, s28, v54
	v_addc_co_u32_e32 v55, vcc, v55, v2, vcc
	v_add_co_u32_e32 v56, vcc, s28, v56
	v_addc_co_u32_e32 v57, vcc, v57, v2, vcc
	v_add_co_u32_e32 v58, vcc, s28, v58
	v_addc_co_u32_e32 v59, vcc, v59, v2, vcc
	v_add_co_u32_e32 v60, vcc, s28, v60
	v_addc_co_u32_e32 v61, vcc, v61, v2, vcc
	v_add_co_u32_e32 v62, vcc, s28, v62
	v_addc_co_u32_e32 v63, vcc, v63, v2, vcc
	v_add_co_u32_e32 v64, vcc, s28, v64
	v_addc_co_u32_e32 v65, vcc, v65, v2, vcc
	v_add_co_u32_e32 v66, vcc, s28, v66
	v_addc_co_u32_e32 v67, vcc, v67, v2, vcc
	v_add_co_u32_e32 v84, vcc, s28, v84
	v_addc_co_u32_e32 v85, vcc, v85, v2, vcc
	v_add_co_u32_e32 v68, vcc, s28, v68
	v_addc_co_u32_e32 v69, vcc, v69, v2, vcc
	v_add_co_u32_e32 v70, vcc, s28, v70
	v_addc_co_u32_e32 v71, vcc, v71, v2, vcc
	v_add_co_u32_e32 v72, vcc, s28, v72
	v_addc_co_u32_e32 v73, vcc, v73, v2, vcc
	v_add_co_u32_e32 v74, vcc, s28, v74
	v_addc_co_u32_e32 v75, vcc, v75, v2, vcc
	v_add_co_u32_e32 v76, vcc, s28, v76
	v_addc_co_u32_e32 v77, vcc, v77, v2, vcc
	v_add_co_u32_e32 v80, vcc, s28, v80
	v_addc_co_u32_e32 v81, vcc, v81, v2, vcc
	v_add_co_u32_e32 v78, vcc, s28, v78
	s_add_u32 s18, s18, s14
	v_addc_co_u32_e32 v79, vcc, v79, v2, vcc
	s_addc_u32 s19, s19, 0
	s_and_b64 vcc, exec, s[0:1]
	s_cbranch_vccnz .LBB2_65
.LBB2_25:                               ; =>This Inner Loop Header: Depth=1
	v_pk_mov_b32 v[4:5], 0, 0
	v_cmp_gt_u64_e32 vcc, s[12:13], v[0:1]
	v_pk_mov_b32 v[20:21], v[4:5], v[4:5] op_sel:[0,1]
	v_pk_mov_b32 v[18:19], v[4:5], v[4:5] op_sel:[0,1]
	;; [unrolled: 1-line block ×4, first 2 shown]
	s_and_saveexec_b64 s[2:3], vcc
	s_cbranch_execz .LBB2_27
; %bb.26:                               ;   in Loop: Header=BB2_25 Depth=1
	v_mov_b32_e32 v6, s9
	v_add_co_u32_e64 v2, s[0:1], s8, v82
	v_addc_co_u32_e64 v3, s[0:1], v83, v6, s[0:1]
	v_add_co_u32_e64 v10, s[0:1], s8, v54
	v_addc_co_u32_e64 v11, s[0:1], v55, v6, s[0:1]
	global_load_dwordx4 v[6:9], v[10:11], off offset:-8
	global_load_dwordx4 v[18:21], v[2:3], off offset:-8
.LBB2_27:                               ;   in Loop: Header=BB2_25 Depth=1
	s_or_b64 exec, exec, s[2:3]
	v_pk_mov_b32 v[2:3], v[4:5], v[4:5] op_sel:[0,1]
	s_and_saveexec_b64 s[2:3], vcc
	s_cbranch_execz .LBB2_29
; %bb.28:                               ;   in Loop: Header=BB2_25 Depth=1
	v_mov_b32_e32 v3, s9
	v_add_co_u32_e64 v2, s[0:1], s8, v58
	v_addc_co_u32_e64 v3, s[0:1], v59, v3, s[0:1]
	global_load_dwordx4 v[2:5], v[2:3], off offset:-8
.LBB2_29:                               ;   in Loop: Header=BB2_25 Depth=1
	s_or_b64 exec, exec, s[2:3]
	v_mov_b32_e32 v11, s22
	v_add_co_u32_e64 v10, s[0:1], s23, v0
	v_addc_co_u32_e64 v11, s[0:1], v11, v1, s[0:1]
	v_pk_mov_b32 v[12:13], 0, 0
	v_cmp_gt_u64_e64 s[0:1], s[12:13], v[10:11]
	v_pk_mov_b32 v[28:29], v[12:13], v[12:13] op_sel:[0,1]
	v_pk_mov_b32 v[26:27], v[12:13], v[12:13] op_sel:[0,1]
	;; [unrolled: 1-line block ×4, first 2 shown]
	s_and_saveexec_b64 s[4:5], s[0:1]
	s_cbranch_execz .LBB2_31
; %bb.30:                               ;   in Loop: Header=BB2_25 Depth=1
	v_mov_b32_e32 v14, s9
	v_add_co_u32_e64 v10, s[2:3], s8, v84
	v_addc_co_u32_e64 v11, s[2:3], v85, v14, s[2:3]
	v_add_co_u32_e64 v22, s[2:3], s8, v64
	v_addc_co_u32_e64 v23, s[2:3], v65, v14, s[2:3]
	global_load_dwordx4 v[14:17], v[22:23], off
	global_load_dwordx4 v[26:29], v[10:11], off
.LBB2_31:                               ;   in Loop: Header=BB2_25 Depth=1
	s_or_b64 exec, exec, s[4:5]
	v_pk_mov_b32 v[10:11], v[12:13], v[12:13] op_sel:[0,1]
	s_and_saveexec_b64 s[4:5], s[0:1]
	s_cbranch_execz .LBB2_33
; %bb.32:                               ;   in Loop: Header=BB2_25 Depth=1
	v_mov_b32_e32 v11, s9
	v_add_co_u32_e64 v10, s[2:3], s8, v60
	v_addc_co_u32_e64 v11, s[2:3], v61, v11, s[2:3]
	global_load_dwordx4 v[10:13], v[10:11], off
.LBB2_33:                               ;   in Loop: Header=BB2_25 Depth=1
	s_or_b64 exec, exec, s[4:5]
	v_mov_b32_e32 v23, s25
	v_add_co_u32_e64 v22, s[2:3], s24, v0
	v_addc_co_u32_e64 v23, s[2:3], v23, v1, s[2:3]
	v_pk_mov_b32 v[24:25], 0, 0
	v_cmp_gt_u64_e64 s[2:3], s[12:13], v[22:23]
	v_pk_mov_b32 v[40:41], v[24:25], v[24:25] op_sel:[0,1]
	v_pk_mov_b32 v[38:39], v[24:25], v[24:25] op_sel:[0,1]
	;; [unrolled: 1-line block ×4, first 2 shown]
	s_and_saveexec_b64 s[6:7], s[2:3]
	s_cbranch_execz .LBB2_35
; %bb.34:                               ;   in Loop: Header=BB2_25 Depth=1
	v_mov_b32_e32 v30, s9
	v_add_co_u32_e64 v22, s[4:5], s8, v80
	v_addc_co_u32_e64 v23, s[4:5], v81, v30, s[4:5]
	v_add_co_u32_e64 v34, s[4:5], s8, v78
	v_addc_co_u32_e64 v35, s[4:5], v79, v30, s[4:5]
	global_load_dwordx4 v[30:33], v[34:35], off offset:-8
	global_load_dwordx4 v[38:41], v[22:23], off offset:-8
.LBB2_35:                               ;   in Loop: Header=BB2_25 Depth=1
	s_or_b64 exec, exec, s[6:7]
	v_pk_mov_b32 v[22:23], v[24:25], v[24:25] op_sel:[0,1]
	s_and_saveexec_b64 s[6:7], s[2:3]
	s_cbranch_execz .LBB2_37
; %bb.36:                               ;   in Loop: Header=BB2_25 Depth=1
	v_mov_b32_e32 v23, s9
	v_add_co_u32_e64 v22, s[4:5], s8, v76
	v_addc_co_u32_e64 v23, s[4:5], v77, v23, s[4:5]
	global_load_dwordx4 v[22:25], v[22:23], off
.LBB2_37:                               ;   in Loop: Header=BB2_25 Depth=1
	s_or_b64 exec, exec, s[6:7]
	v_mov_b32_e32 v35, s27
	v_add_co_u32_e64 v34, s[4:5], s26, v0
	v_addc_co_u32_e64 v35, s[4:5], v35, v1, s[4:5]
	v_pk_mov_b32 v[36:37], 0, 0
	v_cmp_gt_u64_e64 s[4:5], s[12:13], v[34:35]
	v_pk_mov_b32 v[48:49], v[36:37], v[36:37] op_sel:[0,1]
	v_pk_mov_b32 v[46:47], v[36:37], v[36:37] op_sel:[0,1]
	;; [unrolled: 1-line block ×4, first 2 shown]
	s_and_saveexec_b64 s[20:21], s[4:5]
	s_cbranch_execz .LBB2_39
; %bb.38:                               ;   in Loop: Header=BB2_25 Depth=1
	v_mov_b32_e32 v42, s9
	v_add_co_u32_e64 v34, s[6:7], s8, v66
	v_addc_co_u32_e64 v35, s[6:7], v67, v42, s[6:7]
	v_add_co_u32_e64 v50, s[6:7], s8, v68
	v_addc_co_u32_e64 v51, s[6:7], v69, v42, s[6:7]
	global_load_dwordx4 v[42:45], v[50:51], off offset:-8
	global_load_dwordx4 v[46:49], v[34:35], off offset:-8
.LBB2_39:                               ;   in Loop: Header=BB2_25 Depth=1
	s_or_b64 exec, exec, s[20:21]
	v_pk_mov_b32 v[34:35], v[36:37], v[36:37] op_sel:[0,1]
	s_and_saveexec_b64 s[20:21], s[4:5]
	s_cbranch_execz .LBB2_41
; %bb.40:                               ;   in Loop: Header=BB2_25 Depth=1
	v_mov_b32_e32 v35, s9
	v_add_co_u32_e64 v34, s[6:7], s8, v70
	v_addc_co_u32_e64 v35, s[6:7], v71, v35, s[6:7]
	global_load_dwordx4 v[34:37], v[34:35], off offset:-8
.LBB2_41:                               ;   in Loop: Header=BB2_25 Depth=1
	s_or_b64 exec, exec, s[20:21]
	s_waitcnt vmcnt(0)
	v_mul_f64 v[50:51], v[2:3], v[2:3]
	v_fmac_f64_e32 v[50:51], v[4:5], v[4:5]
	v_cmp_ngt_f64_e64 s[6:7], s[16:17], v[50:51]
	v_add_f64 v[86:87], v[18:19], -v[6:7]
	v_add_f64 v[88:89], v[20:21], -v[8:9]
                                        ; implicit-def: $vgpr52_vgpr53
	s_and_saveexec_b64 s[20:21], s[6:7]
	s_xor_b64 s[6:7], exec, s[20:21]
; %bb.42:                               ;   in Loop: Header=BB2_25 Depth=1
	v_add_f64 v[4:5], -v[4:5], 0
	v_add_f64 v[2:3], -v[2:3], 1.0
	v_mul_f64 v[6:7], v[88:89], v[4:5]
	v_fma_f64 v[6:7], v[86:87], v[2:3], -v[6:7]
	v_mul_f64 v[2:3], v[88:89], v[2:3]
	v_fmac_f64_e32 v[2:3], v[86:87], v[4:5]
	v_add_f64 v[50:51], v[18:19], -v[6:7]
	v_add_f64 v[52:53], v[20:21], -v[2:3]
                                        ; implicit-def: $vgpr88_vgpr89
                                        ; implicit-def: $vgpr4_vgpr5
                                        ; implicit-def: $vgpr86_vgpr87
                                        ; implicit-def: $vgpr6_vgpr7
; %bb.43:                               ;   in Loop: Header=BB2_25 Depth=1
	s_andn2_saveexec_b64 s[6:7], s[6:7]
; %bb.44:                               ;   in Loop: Header=BB2_25 Depth=1
	v_mul_f64 v[18:19], v[88:89], v[4:5]
	v_fma_f64 v[18:19], v[86:87], v[2:3], -v[18:19]
	v_mul_f64 v[2:3], v[88:89], v[2:3]
	v_fmac_f64_e32 v[2:3], v[86:87], v[4:5]
	v_add_f64 v[50:51], v[6:7], v[18:19]
	v_add_f64 v[52:53], v[8:9], v[2:3]
; %bb.45:                               ;   in Loop: Header=BB2_25 Depth=1
	s_or_b64 exec, exec, s[6:7]
	v_mul_f64 v[2:3], v[10:11], v[10:11]
	v_fmac_f64_e32 v[2:3], v[12:13], v[12:13]
	v_cmp_ngt_f64_e64 s[6:7], s[16:17], v[2:3]
	v_add_f64 v[6:7], v[26:27], -v[14:15]
	v_add_f64 v[8:9], v[28:29], -v[16:17]
                                        ; implicit-def: $vgpr4_vgpr5
	s_and_saveexec_b64 s[20:21], s[6:7]
	s_xor_b64 s[6:7], exec, s[20:21]
; %bb.46:                               ;   in Loop: Header=BB2_25 Depth=1
	v_add_f64 v[2:3], -v[10:11], 1.0
	v_add_f64 v[4:5], -v[12:13], 0
	v_mul_f64 v[10:11], v[8:9], v[4:5]
	v_mul_f64 v[8:9], v[8:9], v[2:3]
	v_fma_f64 v[10:11], v[6:7], v[2:3], -v[10:11]
	v_fmac_f64_e32 v[8:9], v[6:7], v[4:5]
	v_add_f64 v[2:3], v[26:27], -v[10:11]
	v_add_f64 v[4:5], v[28:29], -v[8:9]
                                        ; implicit-def: $vgpr8_vgpr9
                                        ; implicit-def: $vgpr12_vgpr13
                                        ; implicit-def: $vgpr6_vgpr7
                                        ; implicit-def: $vgpr14_vgpr15
; %bb.47:                               ;   in Loop: Header=BB2_25 Depth=1
	s_andn2_saveexec_b64 s[6:7], s[6:7]
; %bb.48:                               ;   in Loop: Header=BB2_25 Depth=1
	v_mul_f64 v[2:3], v[8:9], v[12:13]
	v_mul_f64 v[4:5], v[8:9], v[10:11]
	v_fma_f64 v[2:3], v[6:7], v[10:11], -v[2:3]
	v_fmac_f64_e32 v[4:5], v[6:7], v[12:13]
	v_add_f64 v[2:3], v[14:15], v[2:3]
	v_add_f64 v[4:5], v[16:17], v[4:5]
; %bb.49:                               ;   in Loop: Header=BB2_25 Depth=1
	s_or_b64 exec, exec, s[6:7]
	v_mul_f64 v[6:7], v[22:23], v[22:23]
	v_fmac_f64_e32 v[6:7], v[24:25], v[24:25]
	v_cmp_ngt_f64_e64 s[6:7], s[16:17], v[6:7]
	v_add_f64 v[10:11], v[38:39], -v[30:31]
	v_add_f64 v[12:13], v[40:41], -v[32:33]
                                        ; implicit-def: $vgpr8_vgpr9
	s_and_saveexec_b64 s[20:21], s[6:7]
	s_xor_b64 s[6:7], exec, s[20:21]
; %bb.50:                               ;   in Loop: Header=BB2_25 Depth=1
	v_add_f64 v[6:7], -v[22:23], 1.0
	v_add_f64 v[8:9], -v[24:25], 0
	v_mul_f64 v[14:15], v[12:13], v[8:9]
	v_mul_f64 v[12:13], v[12:13], v[6:7]
	v_fma_f64 v[14:15], v[10:11], v[6:7], -v[14:15]
	v_fmac_f64_e32 v[12:13], v[10:11], v[8:9]
	v_add_f64 v[6:7], v[38:39], -v[14:15]
	v_add_f64 v[8:9], v[40:41], -v[12:13]
                                        ; implicit-def: $vgpr12_vgpr13
                                        ; implicit-def: $vgpr24_vgpr25
                                        ; implicit-def: $vgpr10_vgpr11
                                        ; implicit-def: $vgpr30_vgpr31
; %bb.51:                               ;   in Loop: Header=BB2_25 Depth=1
	s_andn2_saveexec_b64 s[6:7], s[6:7]
; %bb.52:                               ;   in Loop: Header=BB2_25 Depth=1
	v_mul_f64 v[6:7], v[12:13], v[24:25]
	v_mul_f64 v[8:9], v[12:13], v[22:23]
	v_fma_f64 v[6:7], v[10:11], v[22:23], -v[6:7]
	v_fmac_f64_e32 v[8:9], v[10:11], v[24:25]
	v_add_f64 v[6:7], v[30:31], v[6:7]
	v_add_f64 v[8:9], v[32:33], v[8:9]
; %bb.53:                               ;   in Loop: Header=BB2_25 Depth=1
	s_or_b64 exec, exec, s[6:7]
	v_mul_f64 v[10:11], v[34:35], v[34:35]
	v_fmac_f64_e32 v[10:11], v[36:37], v[36:37]
	v_cmp_ngt_f64_e64 s[6:7], s[16:17], v[10:11]
	v_add_f64 v[14:15], v[46:47], -v[42:43]
	v_add_f64 v[16:17], v[48:49], -v[44:45]
                                        ; implicit-def: $vgpr12_vgpr13
	s_and_saveexec_b64 s[20:21], s[6:7]
	s_xor_b64 s[6:7], exec, s[20:21]
	s_cbranch_execnz .LBB2_59
; %bb.54:                               ;   in Loop: Header=BB2_25 Depth=1
	s_andn2_saveexec_b64 s[6:7], s[6:7]
	s_cbranch_execnz .LBB2_60
.LBB2_55:                               ;   in Loop: Header=BB2_25 Depth=1
	s_or_b64 exec, exec, s[6:7]
	s_and_saveexec_b64 s[6:7], vcc
	s_xor_b64 s[6:7], exec, s[6:7]
	s_cbranch_execnz .LBB2_61
.LBB2_56:                               ;   in Loop: Header=BB2_25 Depth=1
	s_or_b64 exec, exec, s[6:7]
	s_and_saveexec_b64 s[6:7], s[0:1]
	s_cbranch_execnz .LBB2_62
.LBB2_57:                               ;   in Loop: Header=BB2_25 Depth=1
	s_or_b64 exec, exec, s[6:7]
	s_and_saveexec_b64 s[0:1], s[2:3]
	s_cbranch_execnz .LBB2_63
.LBB2_58:                               ;   in Loop: Header=BB2_25 Depth=1
	s_or_b64 exec, exec, s[0:1]
	s_and_saveexec_b64 s[0:1], s[4:5]
	s_cbranch_execz .LBB2_24
	s_branch .LBB2_64
.LBB2_59:                               ;   in Loop: Header=BB2_25 Depth=1
	v_add_f64 v[10:11], -v[34:35], 1.0
	v_add_f64 v[12:13], -v[36:37], 0
	v_mul_f64 v[18:19], v[16:17], v[12:13]
	v_mul_f64 v[16:17], v[16:17], v[10:11]
	v_fma_f64 v[18:19], v[14:15], v[10:11], -v[18:19]
	v_fmac_f64_e32 v[16:17], v[14:15], v[12:13]
	v_add_f64 v[10:11], v[46:47], -v[18:19]
	v_add_f64 v[12:13], v[48:49], -v[16:17]
                                        ; implicit-def: $vgpr16_vgpr17
                                        ; implicit-def: $vgpr36_vgpr37
                                        ; implicit-def: $vgpr14_vgpr15
                                        ; implicit-def: $vgpr42_vgpr43
	s_andn2_saveexec_b64 s[6:7], s[6:7]
	s_cbranch_execz .LBB2_55
.LBB2_60:                               ;   in Loop: Header=BB2_25 Depth=1
	v_mul_f64 v[10:11], v[16:17], v[36:37]
	v_mul_f64 v[12:13], v[16:17], v[34:35]
	v_fma_f64 v[10:11], v[14:15], v[34:35], -v[10:11]
	v_fmac_f64_e32 v[12:13], v[14:15], v[36:37]
	v_add_f64 v[10:11], v[42:43], v[10:11]
	v_add_f64 v[12:13], v[44:45], v[12:13]
	s_or_b64 exec, exec, s[6:7]
	s_and_saveexec_b64 s[6:7], vcc
	s_xor_b64 s[6:7], exec, s[6:7]
	s_cbranch_execz .LBB2_56
.LBB2_61:                               ;   in Loop: Header=BB2_25 Depth=1
	v_mov_b32_e32 v15, s9
	v_add_co_u32_e32 v14, vcc, s8, v62
	v_addc_co_u32_e32 v15, vcc, v63, v15, vcc
	global_store_dwordx4 v[14:15], v[50:53], off offset:-8
	s_or_b64 exec, exec, s[6:7]
	s_and_saveexec_b64 s[6:7], s[0:1]
	s_cbranch_execz .LBB2_57
.LBB2_62:                               ;   in Loop: Header=BB2_25 Depth=1
	v_mov_b32_e32 v15, s9
	v_add_co_u32_e32 v14, vcc, s8, v56
	v_addc_co_u32_e32 v15, vcc, v57, v15, vcc
	global_store_dwordx4 v[14:15], v[2:5], off
	s_or_b64 exec, exec, s[6:7]
	s_and_saveexec_b64 s[0:1], s[2:3]
	s_cbranch_execz .LBB2_58
.LBB2_63:                               ;   in Loop: Header=BB2_25 Depth=1
	v_mov_b32_e32 v3, s9
	v_add_co_u32_e32 v2, vcc, s8, v72
	v_addc_co_u32_e32 v3, vcc, v73, v3, vcc
	global_store_dwordx4 v[2:3], v[6:9], off
	s_or_b64 exec, exec, s[0:1]
	s_and_saveexec_b64 s[0:1], s[4:5]
	s_cbranch_execz .LBB2_24
.LBB2_64:                               ;   in Loop: Header=BB2_25 Depth=1
	v_mov_b32_e32 v3, s9
	v_add_co_u32_e32 v2, vcc, s8, v74
	v_addc_co_u32_e32 v3, vcc, v75, v3, vcc
	global_store_dwordx4 v[2:3], v[10:13], off offset:-8
	s_branch .LBB2_24
.LBB2_65:
	s_endpgm
	.section	.rodata,"a",@progbits
	.p2align	6, 0x0
	.amdhsa_kernel _ZN2at6native12_GLOBAL__N_125multi_tensor_apply_kernelINS1_18TensorListMetadataILi4EEENS1_20TernaryOpListFunctorIN3c107complexIdEELi4ELi3ELi3EEEJNS0_11LerpFunctorIS8_EEEEEvT_T0_DpT1_
		.amdhsa_group_segment_fixed_size 0
		.amdhsa_private_segment_fixed_size 0
		.amdhsa_kernarg_size 3312
		.amdhsa_user_sgpr_count 6
		.amdhsa_user_sgpr_private_segment_buffer 1
		.amdhsa_user_sgpr_dispatch_ptr 0
		.amdhsa_user_sgpr_queue_ptr 0
		.amdhsa_user_sgpr_kernarg_segment_ptr 1
		.amdhsa_user_sgpr_dispatch_id 0
		.amdhsa_user_sgpr_flat_scratch_init 0
		.amdhsa_user_sgpr_kernarg_preload_length 0
		.amdhsa_user_sgpr_kernarg_preload_offset 0
		.amdhsa_user_sgpr_private_segment_size 0
		.amdhsa_uses_dynamic_stack 0
		.amdhsa_system_sgpr_private_segment_wavefront_offset 0
		.amdhsa_system_sgpr_workgroup_id_x 1
		.amdhsa_system_sgpr_workgroup_id_y 0
		.amdhsa_system_sgpr_workgroup_id_z 0
		.amdhsa_system_sgpr_workgroup_info 0
		.amdhsa_system_vgpr_workitem_id 0
		.amdhsa_next_free_vgpr 90
		.amdhsa_next_free_sgpr 36
		.amdhsa_accum_offset 92
		.amdhsa_reserve_vcc 1
		.amdhsa_reserve_flat_scratch 0
		.amdhsa_float_round_mode_32 0
		.amdhsa_float_round_mode_16_64 0
		.amdhsa_float_denorm_mode_32 3
		.amdhsa_float_denorm_mode_16_64 3
		.amdhsa_dx10_clamp 1
		.amdhsa_ieee_mode 1
		.amdhsa_fp16_overflow 0
		.amdhsa_tg_split 0
		.amdhsa_exception_fp_ieee_invalid_op 0
		.amdhsa_exception_fp_denorm_src 0
		.amdhsa_exception_fp_ieee_div_zero 0
		.amdhsa_exception_fp_ieee_overflow 0
		.amdhsa_exception_fp_ieee_underflow 0
		.amdhsa_exception_fp_ieee_inexact 0
		.amdhsa_exception_int_div_zero 0
	.end_amdhsa_kernel
	.section	.text._ZN2at6native12_GLOBAL__N_125multi_tensor_apply_kernelINS1_18TensorListMetadataILi4EEENS1_20TernaryOpListFunctorIN3c107complexIdEELi4ELi3ELi3EEEJNS0_11LerpFunctorIS8_EEEEEvT_T0_DpT1_,"axG",@progbits,_ZN2at6native12_GLOBAL__N_125multi_tensor_apply_kernelINS1_18TensorListMetadataILi4EEENS1_20TernaryOpListFunctorIN3c107complexIdEELi4ELi3ELi3EEEJNS0_11LerpFunctorIS8_EEEEEvT_T0_DpT1_,comdat
.Lfunc_end2:
	.size	_ZN2at6native12_GLOBAL__N_125multi_tensor_apply_kernelINS1_18TensorListMetadataILi4EEENS1_20TernaryOpListFunctorIN3c107complexIdEELi4ELi3ELi3EEEJNS0_11LerpFunctorIS8_EEEEEvT_T0_DpT1_, .Lfunc_end2-_ZN2at6native12_GLOBAL__N_125multi_tensor_apply_kernelINS1_18TensorListMetadataILi4EEENS1_20TernaryOpListFunctorIN3c107complexIdEELi4ELi3ELi3EEEJNS0_11LerpFunctorIS8_EEEEEvT_T0_DpT1_
                                        ; -- End function
	.section	.AMDGPU.csdata,"",@progbits
; Kernel info:
; codeLenInByte = 3268
; NumSgprs: 40
; NumVgprs: 90
; NumAgprs: 0
; TotalNumVgprs: 90
; ScratchSize: 0
; MemoryBound: 1
; FloatMode: 240
; IeeeMode: 1
; LDSByteSize: 0 bytes/workgroup (compile time only)
; SGPRBlocks: 4
; VGPRBlocks: 11
; NumSGPRsForWavesPerEU: 40
; NumVGPRsForWavesPerEU: 90
; AccumOffset: 92
; Occupancy: 5
; WaveLimiterHint : 0
; COMPUTE_PGM_RSRC2:SCRATCH_EN: 0
; COMPUTE_PGM_RSRC2:USER_SGPR: 6
; COMPUTE_PGM_RSRC2:TRAP_HANDLER: 0
; COMPUTE_PGM_RSRC2:TGID_X_EN: 1
; COMPUTE_PGM_RSRC2:TGID_Y_EN: 0
; COMPUTE_PGM_RSRC2:TGID_Z_EN: 0
; COMPUTE_PGM_RSRC2:TIDIG_COMP_CNT: 0
; COMPUTE_PGM_RSRC3_GFX90A:ACCUM_OFFSET: 22
; COMPUTE_PGM_RSRC3_GFX90A:TG_SPLIT: 0
	.section	.text._ZN2at6native12_GLOBAL__N_125multi_tensor_apply_kernelINS1_18TensorListMetadataILi4EEENS1_20TernaryOpListFunctorIN3c107complexIfEELi4ELi3ELi3EEEJNS0_11LerpFunctorIS8_EEEEEvT_T0_DpT1_,"axG",@progbits,_ZN2at6native12_GLOBAL__N_125multi_tensor_apply_kernelINS1_18TensorListMetadataILi4EEENS1_20TernaryOpListFunctorIN3c107complexIfEELi4ELi3ELi3EEEJNS0_11LerpFunctorIS8_EEEEEvT_T0_DpT1_,comdat
	.globl	_ZN2at6native12_GLOBAL__N_125multi_tensor_apply_kernelINS1_18TensorListMetadataILi4EEENS1_20TernaryOpListFunctorIN3c107complexIfEELi4ELi3ELi3EEEJNS0_11LerpFunctorIS8_EEEEEvT_T0_DpT1_ ; -- Begin function _ZN2at6native12_GLOBAL__N_125multi_tensor_apply_kernelINS1_18TensorListMetadataILi4EEENS1_20TernaryOpListFunctorIN3c107complexIfEELi4ELi3ELi3EEEJNS0_11LerpFunctorIS8_EEEEEvT_T0_DpT1_
	.p2align	8
	.type	_ZN2at6native12_GLOBAL__N_125multi_tensor_apply_kernelINS1_18TensorListMetadataILi4EEENS1_20TernaryOpListFunctorIN3c107complexIfEELi4ELi3ELi3EEEJNS0_11LerpFunctorIS8_EEEEEvT_T0_DpT1_,@function
_ZN2at6native12_GLOBAL__N_125multi_tensor_apply_kernelINS1_18TensorListMetadataILi4EEENS1_20TernaryOpListFunctorIN3c107complexIfEELi4ELi3ELi3EEEJNS0_11LerpFunctorIS8_EEEEEvT_T0_DpT1_: ; @_ZN2at6native12_GLOBAL__N_125multi_tensor_apply_kernelINS1_18TensorListMetadataILi4EEENS1_20TernaryOpListFunctorIN3c107complexIfEELi4ELi3ELi3EEEJNS0_11LerpFunctorIS8_EEEEEvT_T0_DpT1_
; %bb.0:
	v_mov_b32_e32 v1, s6
	global_load_ubyte v1, v1, s[4:5] offset:1440
	s_add_u32 s0, s4, s6
	s_mul_hi_u32 s1, s6, 3
	s_mul_i32 s6, s6, 3
	s_addc_u32 s2, s5, 0
	s_add_u32 s0, s0, s6
	s_addc_u32 s1, s2, s1
	s_load_dword s0, s[0:1], 0x6e0
	s_mov_b32 s13, 0
	s_mov_b32 s15, s13
	s_waitcnt vmcnt(0)
	v_readfirstlane_b32 s1, v1
	s_lshl_b32 s8, s1, 3
	s_load_dwordx2 s[20:21], s[4:5], s8 offset:0x480
	s_waitcnt lgkmcnt(0)
	s_ashr_i32 s1, s0, 31
	s_load_dwordx2 s[16:17], s[4:5], s8 offset:0x0
	s_load_dwordx2 s[18:19], s[4:5], s8 offset:0x120
	;; [unrolled: 1-line block ×4, first 2 shown]
	s_lshl_b64 s[8:9], s[0:1], 19
	s_waitcnt lgkmcnt(0)
	s_add_u32 s24, s16, s8
	s_addc_u32 s25, s17, s9
	s_add_u32 s26, s18, s8
	s_addc_u32 s27, s19, s9
	s_and_b32 s12, s26, 31
	s_add_u32 s28, s6, s8
	s_addc_u32 s29, s7, s9
	s_add_u32 s30, s2, s8
	s_addc_u32 s31, s3, s9
	s_or_b32 s10, s30, s28
	s_and_b32 s10, s10, 31
	s_cmp_lg_u32 s10, 0
	s_cselect_b64 s[10:11], -1, 0
	s_lshl_b64 s[0:1], s[0:1], 16
	s_and_b32 s14, s24, 31
	s_cmp_lg_u64 s[12:13], 0
	s_cselect_b64 s[22:23], -1, 0
	s_or_b64 s[22:23], s[10:11], s[22:23]
	s_sub_u32 s10, s20, s0
	s_subb_u32 s11, s21, s1
	s_and_b32 s12, s20, 3
	s_or_b64 s[0:1], s[14:15], s[12:13]
	s_cmp_lg_u64 s[0:1], 0
	s_cselect_b64 s[0:1], -1, 0
	s_or_b64 s[0:1], s[22:23], s[0:1]
	s_andn2_b64 vcc, exec, s[0:1]
	s_mov_b64 s[0:1], -1
	s_cbranch_vccz .LBB3_21
; %bb.1:
	v_mov_b32_e32 v31, 0
	v_lshlrev_b32_e32 v30, 2, v0
	v_cmp_gt_i64_e32 vcc, s[10:11], v[30:31]
	s_and_saveexec_b64 s[14:15], vcc
	s_cbranch_execz .LBB3_20
; %bb.2:
	s_load_dword s0, s[4:5], 0xbfc
	v_lshlrev_b32_e32 v32, 5, v0
	s_mov_b64 s[20:21], 0
	s_mov_b32 s34, 0x3e800000
	s_mov_b64 s[22:23], 0xffff
	s_waitcnt lgkmcnt(0)
	s_and_b32 s0, s0, 0xffff
	v_add_lshl_u32 v30, v0, s0, 2
	s_lshl_b32 s12, s0, 2
	s_lshl_b32 s33, s0, 5
	s_branch .LBB3_4
.LBB3_3:                                ;   in Loop: Header=BB3_4 Depth=1
	s_or_b64 exec, exec, s[0:1]
	v_mov_b32_e32 v1, s31
	v_add_co_u32_e32 v2, vcc, s30, v32
	v_addc_co_u32_e32 v3, vcc, 0, v1, vcc
	v_cmp_le_i64_e32 vcc, s[10:11], v[30:31]
	v_cmp_lt_u64_e64 s[0:1], s[22:23], v[30:31]
	s_or_b64 s[0:1], vcc, s[0:1]
	s_add_u32 s24, s24, s33
	s_addc_u32 s25, s25, 0
	s_add_u32 s30, s30, s33
	s_addc_u32 s31, s31, 0
	;; [unrolled: 2-line block ×4, first 2 shown]
	v_mov_b32_e32 v1, s13
	s_and_b64 s[0:1], exec, s[0:1]
	v_add_co_u32_e32 v30, vcc, s12, v30
	s_or_b64 s[20:21], s[0:1], s[20:21]
	v_addc_co_u32_e32 v31, vcc, v31, v1, vcc
	global_store_dwordx4 v[2:3], v[10:13], off
	global_store_dwordx4 v[2:3], v[18:21], off offset:16
	s_andn2_b64 exec, exec, s[20:21]
	s_cbranch_execz .LBB3_20
.LBB3_4:                                ; =>This Inner Loop Header: Depth=1
	v_mov_b32_e32 v1, s25
	v_add_co_u32_e32 v10, vcc, s24, v32
	v_addc_co_u32_e32 v11, vcc, 0, v1, vcc
	v_mov_b32_e32 v1, s27
	v_add_co_u32_e32 v12, vcc, s26, v32
	v_addc_co_u32_e32 v13, vcc, 0, v1, vcc
	;; [unrolled: 3-line block ×3, first 2 shown]
	global_load_dwordx4 v[2:5], v[34:35], off offset:16
	global_load_dwordx4 v[18:21], v[34:35], off
	global_load_dwordx4 v[6:9], v[10:11], off offset:16
	global_load_dwordx4 v[22:25], v[10:11], off
	global_load_dwordx4 v[26:29], v[12:13], off
	global_load_dwordx4 v[14:17], v[12:13], off offset:16
	s_waitcnt vmcnt(4)
	v_pk_mul_f32 v[10:11], v[18:19], v[18:19]
	v_add_f32_e32 v1, v10, v11
	v_cmp_ngt_f32_e32 vcc, s34, v1
	s_waitcnt vmcnt(1)
	v_pk_add_f32 v[12:13], v[26:27], v[22:23] neg_lo:[0,1] neg_hi:[0,1]
                                        ; implicit-def: $vgpr10_vgpr11
	s_and_saveexec_b64 s[0:1], vcc
	s_xor_b64 s[0:1], exec, s[0:1]
; %bb.5:                                ;   in Loop: Header=BB3_4 Depth=1
	v_sub_f32_e32 v34, 0, v19
	v_sub_f32_e32 v10, 1.0, v18
	v_pk_mul_f32 v[34:35], v[12:13], v[34:35] op_sel_hi:[1,0]
	v_pk_fma_f32 v[36:37], v[12:13], v[10:11], v[34:35] op_sel:[0,0,1] op_sel_hi:[1,1,0] neg_lo:[0,0,1] neg_hi:[0,0,1]
	v_pk_fma_f32 v[10:11], v[12:13], v[10:11], v[34:35] op_sel:[0,0,1] op_sel_hi:[1,0,0]
	v_mov_b32_e32 v37, v11
	v_pk_add_f32 v[10:11], v[26:27], v[36:37] neg_lo:[0,1] neg_hi:[0,1]
                                        ; implicit-def: $vgpr12_vgpr13
; %bb.6:                                ;   in Loop: Header=BB3_4 Depth=1
	s_andn2_saveexec_b64 s[0:1], s[0:1]
; %bb.7:                                ;   in Loop: Header=BB3_4 Depth=1
	v_pk_mul_f32 v[10:11], v[12:13], v[18:19] op_sel:[1,0]
	v_pk_fma_f32 v[26:27], v[12:13], v[18:19], v[10:11] op_sel:[0,0,1] op_sel_hi:[1,1,0] neg_lo:[0,0,1] neg_hi:[0,0,1]
	v_pk_fma_f32 v[10:11], v[12:13], v[18:19], v[10:11] op_sel:[0,0,1] op_sel_hi:[0,1,0]
	v_mov_b32_e32 v27, v11
	v_pk_add_f32 v[10:11], v[22:23], v[26:27]
; %bb.8:                                ;   in Loop: Header=BB3_4 Depth=1
	s_or_b64 exec, exec, s[0:1]
	v_pk_mul_f32 v[12:13], v[20:21], v[20:21]
	v_add_f32_e32 v1, v12, v13
	v_cmp_ngt_f32_e32 vcc, s34, v1
	v_pk_add_f32 v[18:19], v[28:29], v[24:25] neg_lo:[0,1] neg_hi:[0,1]
	s_and_saveexec_b64 s[0:1], vcc
	s_xor_b64 s[0:1], exec, s[0:1]
; %bb.9:                                ;   in Loop: Header=BB3_4 Depth=1
	v_sub_f32_e32 v12, 1.0, v20
	v_sub_f32_e32 v20, 0, v21
	v_pk_mul_f32 v[20:21], v[18:19], v[20:21] op_sel_hi:[1,0]
	v_pk_fma_f32 v[22:23], v[18:19], v[12:13], v[20:21] op_sel:[0,0,1] op_sel_hi:[1,1,0] neg_lo:[0,0,1] neg_hi:[0,0,1]
	v_pk_fma_f32 v[12:13], v[18:19], v[12:13], v[20:21] op_sel:[0,0,1] op_sel_hi:[1,0,0]
	v_mov_b32_e32 v23, v13
	v_pk_add_f32 v[12:13], v[28:29], v[22:23] neg_lo:[0,1] neg_hi:[0,1]
                                        ; implicit-def: $vgpr18_vgpr19
                                        ; implicit-def: $vgpr20_vgpr21
                                        ; implicit-def: $vgpr24_vgpr25
; %bb.10:                               ;   in Loop: Header=BB3_4 Depth=1
	s_andn2_saveexec_b64 s[0:1], s[0:1]
; %bb.11:                               ;   in Loop: Header=BB3_4 Depth=1
	v_pk_mul_f32 v[12:13], v[18:19], v[20:21] op_sel:[1,0]
	v_pk_fma_f32 v[22:23], v[18:19], v[20:21], v[12:13] op_sel:[0,0,1] op_sel_hi:[1,1,0] neg_lo:[0,0,1] neg_hi:[0,0,1]
	v_pk_fma_f32 v[12:13], v[18:19], v[20:21], v[12:13] op_sel:[0,0,1] op_sel_hi:[0,1,0]
	v_mov_b32_e32 v23, v13
	v_pk_add_f32 v[12:13], v[24:25], v[22:23]
; %bb.12:                               ;   in Loop: Header=BB3_4 Depth=1
	s_or_b64 exec, exec, s[0:1]
	v_pk_mul_f32 v[18:19], v[2:3], v[2:3]
	v_add_f32_e32 v1, v18, v19
	v_cmp_ngt_f32_e32 vcc, s34, v1
	s_waitcnt vmcnt(0)
	v_pk_add_f32 v[20:21], v[14:15], v[6:7] neg_lo:[0,1] neg_hi:[0,1]
                                        ; implicit-def: $vgpr18_vgpr19
	s_and_saveexec_b64 s[0:1], vcc
	s_xor_b64 s[0:1], exec, s[0:1]
; %bb.13:                               ;   in Loop: Header=BB3_4 Depth=1
	v_sub_f32_e32 v22, 0, v3
	v_sub_f32_e32 v18, 1.0, v2
	v_pk_mul_f32 v[22:23], v[20:21], v[22:23] op_sel_hi:[1,0]
	v_pk_fma_f32 v[24:25], v[20:21], v[18:19], v[22:23] op_sel:[0,0,1] op_sel_hi:[1,1,0] neg_lo:[0,0,1] neg_hi:[0,0,1]
	v_pk_fma_f32 v[18:19], v[20:21], v[18:19], v[22:23] op_sel:[0,0,1] op_sel_hi:[1,0,0]
	v_mov_b32_e32 v25, v19
	v_pk_add_f32 v[18:19], v[14:15], v[24:25] neg_lo:[0,1] neg_hi:[0,1]
                                        ; implicit-def: $vgpr20_vgpr21
; %bb.14:                               ;   in Loop: Header=BB3_4 Depth=1
	s_andn2_saveexec_b64 s[0:1], s[0:1]
; %bb.15:                               ;   in Loop: Header=BB3_4 Depth=1
	v_pk_mul_f32 v[14:15], v[20:21], v[2:3] op_sel:[1,0]
	v_pk_fma_f32 v[18:19], v[20:21], v[2:3], v[14:15] op_sel:[0,0,1] op_sel_hi:[1,1,0] neg_lo:[0,0,1] neg_hi:[0,0,1]
	v_pk_fma_f32 v[2:3], v[20:21], v[2:3], v[14:15] op_sel:[0,0,1] op_sel_hi:[0,1,0]
	v_mov_b32_e32 v19, v3
	v_pk_add_f32 v[18:19], v[6:7], v[18:19]
; %bb.16:                               ;   in Loop: Header=BB3_4 Depth=1
	s_or_b64 exec, exec, s[0:1]
	v_pk_mul_f32 v[2:3], v[4:5], v[4:5]
	v_add_f32_e32 v1, v2, v3
	v_cmp_ngt_f32_e32 vcc, s34, v1
	v_pk_add_f32 v[2:3], v[16:17], v[8:9] neg_lo:[0,1] neg_hi:[0,1]
	s_and_saveexec_b64 s[0:1], vcc
	s_xor_b64 s[0:1], exec, s[0:1]
; %bb.17:                               ;   in Loop: Header=BB3_4 Depth=1
	v_sub_f32_e32 v6, 0, v5
	v_sub_f32_e32 v4, 1.0, v4
	v_pk_mul_f32 v[6:7], v[2:3], v[6:7] op_sel_hi:[1,0]
	v_pk_fma_f32 v[8:9], v[2:3], v[4:5], v[6:7] op_sel:[0,0,1] op_sel_hi:[1,1,0] neg_lo:[0,0,1] neg_hi:[0,0,1]
	v_pk_fma_f32 v[2:3], v[2:3], v[4:5], v[6:7] op_sel:[0,0,1] op_sel_hi:[1,0,0]
	v_mov_b32_e32 v9, v3
	v_pk_add_f32 v[20:21], v[16:17], v[8:9] neg_lo:[0,1] neg_hi:[0,1]
                                        ; implicit-def: $vgpr2_vgpr3
                                        ; implicit-def: $vgpr4_vgpr5
                                        ; implicit-def: $vgpr8_vgpr9
; %bb.18:                               ;   in Loop: Header=BB3_4 Depth=1
	s_andn2_saveexec_b64 s[0:1], s[0:1]
	s_cbranch_execz .LBB3_3
; %bb.19:                               ;   in Loop: Header=BB3_4 Depth=1
	v_pk_mul_f32 v[6:7], v[2:3], v[4:5] op_sel:[1,0]
	v_pk_fma_f32 v[14:15], v[2:3], v[4:5], v[6:7] op_sel:[0,0,1] op_sel_hi:[1,1,0] neg_lo:[0,0,1] neg_hi:[0,0,1]
	v_pk_fma_f32 v[2:3], v[2:3], v[4:5], v[6:7] op_sel:[0,0,1] op_sel_hi:[0,1,0]
	v_mov_b32_e32 v15, v3
	v_pk_add_f32 v[20:21], v[8:9], v[14:15]
	s_branch .LBB3_3
.LBB3_20:
	s_or_b64 exec, exec, s[14:15]
	s_mov_b64 s[0:1], 0
.LBB3_21:
	s_andn2_b64 vcc, exec, s[0:1]
	s_cbranch_vccnz .LBB3_65
; %bb.22:
	v_cmp_lt_i64_e64 s[0:1], s[10:11], 1
	s_and_b64 vcc, exec, s[0:1]
	s_cbranch_vccnz .LBB3_65
; %bb.23:
	s_load_dword s0, s[4:5], 0xbfc
	v_mov_b32_e32 v2, 0x10000
	v_mov_b32_e32 v3, 0
	v_cmp_lt_u64_e32 vcc, s[10:11], v[2:3]
	v_lshlrev_b32_e32 v30, 3, v0
	s_waitcnt lgkmcnt(0)
	s_and_b32 s4, s0, 0xffff
	s_and_b64 s[0:1], vcc, exec
	v_mov_b32_e32 v21, s17
	v_add_co_u32_e32 v2, vcc, s16, v30
	v_addc_co_u32_e32 v1, vcc, 0, v21, vcc
	v_mov_b32_e32 v31, 0
	v_mov_b32_e32 v23, s19
	v_add_co_u32_e32 v4, vcc, s18, v30
	v_addc_co_u32_e32 v3, vcc, 0, v23, vcc
	v_mad_u64_u32 v[12:13], s[0:1], s4, 24, v[30:31]
	v_add_co_u32_e32 v6, vcc, s16, v12
	v_addc_co_u32_e32 v5, vcc, v21, v13, vcc
	v_add_co_u32_e32 v8, vcc, s18, v12
	v_addc_co_u32_e32 v7, vcc, v23, v13, vcc
	v_mov_b32_e32 v27, s7
	v_add_co_u32_e32 v10, vcc, s6, v12
	v_addc_co_u32_e32 v9, vcc, v27, v13, vcc
	v_mov_b32_e32 v34, s3
	v_add_co_u32_e32 v12, vcc, s2, v12
	s_mul_i32 s23, s4, 3
	v_addc_co_u32_e32 v11, vcc, v34, v13, vcc
	v_add_co_u32_e32 v33, vcc, s23, v0
	v_addc_co_u32_e64 v62, s[0:1], 0, 0, vcc
	s_cselect_b32 s15, s11, 0
	s_cselect_b32 s14, s10, 0x10000
	s_lshl_b32 s0, s4, 4
	v_add_co_u32_e32 v19, vcc, s0, v30
	v_addc_co_u32_e64 v22, s[0:1], 0, 0, vcc
	v_add_co_u32_e32 v14, vcc, s16, v19
	v_addc_co_u32_e32 v13, vcc, v21, v22, vcc
	v_add_co_u32_e32 v16, vcc, s18, v19
	v_addc_co_u32_e32 v15, vcc, v23, v22, vcc
	;; [unrolled: 2-line block ×3, first 2 shown]
	v_add_co_u32_e32 v20, vcc, s2, v19
	s_lshl_b32 s5, s4, 1
	v_addc_co_u32_e32 v19, vcc, v34, v22, vcc
	v_add_co_u32_e32 v63, vcc, s5, v0
	v_addc_co_u32_e64 v64, s[0:1], 0, 0, vcc
	v_add_co_u32_e32 v65, vcc, s4, v0
	v_lshlrev_b32_e32 v29, 3, v65
	v_addc_co_u32_e64 v66, s[0:1], 0, 0, vcc
	v_add_co_u32_e32 v22, vcc, s16, v29
	v_addc_co_u32_e32 v21, vcc, 0, v21, vcc
	v_add_co_u32_e32 v24, vcc, s18, v29
	v_addc_co_u32_e32 v23, vcc, 0, v23, vcc
	;; [unrolled: 2-line block ×4, first 2 shown]
	s_mov_b64 s[12:13], 0x3f800000
	v_add_co_u32_e32 v30, vcc, s2, v30
	v_add_co_u32_e64 v32, s[0:1], s2, v29
	s_lshl_b32 s20, s4, 2
	s_lshl_b32 s21, s4, 5
	s_mov_b32 s22, s13
	s_mov_b64 s[16:17], 0
	s_mov_b32 s23, 0x3e800000
	v_addc_co_u32_e32 v29, vcc, 0, v34, vcc
	v_addc_co_u32_e64 v31, vcc, 0, v34, s[0:1]
	s_branch .LBB3_25
.LBB3_24:                               ;   in Loop: Header=BB3_25 Depth=1
	s_or_b64 exec, exec, s[0:1]
	s_add_u32 s16, s16, s20
	s_addc_u32 s17, s17, 0
	v_pk_mov_b32 v[34:35], s[10:11], s[10:11] op_sel:[0,1]
	v_cmp_ge_i64_e32 vcc, s[16:17], v[34:35]
	v_mov_b32_e32 v34, 0xffff
	v_mov_b32_e32 v35, 0
	v_cmp_gt_u64_e64 s[0:1], s[16:17], v[34:35]
	s_or_b64 s[0:1], vcc, s[0:1]
	v_mov_b32_e32 v34, s22
	v_add_co_u32_e32 v2, vcc, s21, v2
	v_addc_co_u32_e32 v1, vcc, v1, v34, vcc
	v_add_co_u32_e32 v4, vcc, s21, v4
	v_addc_co_u32_e32 v3, vcc, v3, v34, vcc
	;; [unrolled: 2-line block ×16, first 2 shown]
	s_and_b64 vcc, exec, s[0:1]
	s_cbranch_vccnz .LBB3_65
.LBB3_25:                               ; =>This Inner Loop Header: Depth=1
	v_mov_b32_e32 v35, s17
	v_add_co_u32_e32 v34, vcc, s16, v0
	v_addc_co_u32_e32 v35, vcc, 0, v35, vcc
	v_cmp_gt_u64_e32 vcc, s[14:15], v[34:35]
	v_mov_b32_e32 v38, 0
	v_mov_b32_e32 v39, 0
	;; [unrolled: 1-line block ×4, first 2 shown]
	s_and_saveexec_b64 s[2:3], vcc
	s_cbranch_execz .LBB3_27
; %bb.26:                               ;   in Loop: Header=BB3_25 Depth=1
	v_mov_b32_e32 v37, s9
	v_add_co_u32_e64 v34, s[0:1], s8, v4
	v_addc_co_u32_e64 v35, s[0:1], v3, v37, s[0:1]
	v_add_co_u32_e64 v36, s[0:1], s8, v2
	v_addc_co_u32_e64 v37, s[0:1], v1, v37, s[0:1]
	global_load_dwordx2 v[38:39], v[36:37], off
	global_load_dwordx2 v[42:43], v[34:35], off
.LBB3_27:                               ;   in Loop: Header=BB3_25 Depth=1
	s_or_b64 exec, exec, s[2:3]
	v_mov_b32_e32 v34, 0
	v_mov_b32_e32 v46, 0
	;; [unrolled: 1-line block ×3, first 2 shown]
	s_and_saveexec_b64 s[2:3], vcc
	s_cbranch_execz .LBB3_29
; %bb.28:                               ;   in Loop: Header=BB3_25 Depth=1
	v_mov_b32_e32 v35, s9
	v_add_co_u32_e64 v36, s[0:1], s8, v26
	v_addc_co_u32_e64 v37, s[0:1], v25, v35, s[0:1]
	global_load_dwordx2 v[46:47], v[36:37], off
.LBB3_29:                               ;   in Loop: Header=BB3_25 Depth=1
	s_or_b64 exec, exec, s[2:3]
	v_mov_b32_e32 v35, s17
	v_add_co_u32_e64 v36, s[0:1], s16, v65
	v_addc_co_u32_e64 v37, s[0:1], v66, v35, s[0:1]
	v_cmp_gt_u64_e64 s[0:1], s[14:15], v[36:37]
	v_mov_b32_e32 v35, 0
	v_mov_b32_e32 v44, 0
	;; [unrolled: 1-line block ×3, first 2 shown]
	s_and_saveexec_b64 s[4:5], s[0:1]
	s_cbranch_execz .LBB3_31
; %bb.30:                               ;   in Loop: Header=BB3_25 Depth=1
	v_mov_b32_e32 v34, s9
	v_add_co_u32_e64 v36, s[2:3], s8, v24
	v_addc_co_u32_e64 v37, s[2:3], v23, v34, s[2:3]
	v_add_co_u32_e64 v40, s[2:3], s8, v22
	v_addc_co_u32_e64 v41, s[2:3], v21, v34, s[2:3]
	global_load_dwordx2 v[34:35], v[40:41], off
	global_load_dwordx2 v[44:45], v[36:37], off
.LBB3_31:                               ;   in Loop: Header=BB3_25 Depth=1
	s_or_b64 exec, exec, s[4:5]
	v_mov_b32_e32 v36, 0
	v_mov_b32_e32 v50, 0
	;; [unrolled: 1-line block ×3, first 2 shown]
	s_and_saveexec_b64 s[4:5], s[0:1]
	s_cbranch_execz .LBB3_33
; %bb.32:                               ;   in Loop: Header=BB3_25 Depth=1
	v_mov_b32_e32 v37, s9
	v_add_co_u32_e64 v40, s[2:3], s8, v28
	v_addc_co_u32_e64 v41, s[2:3], v27, v37, s[2:3]
	global_load_dwordx2 v[50:51], v[40:41], off
.LBB3_33:                               ;   in Loop: Header=BB3_25 Depth=1
	s_or_b64 exec, exec, s[4:5]
	v_mov_b32_e32 v37, s17
	v_add_co_u32_e64 v40, s[2:3], s16, v63
	v_addc_co_u32_e64 v41, s[2:3], v64, v37, s[2:3]
	v_cmp_gt_u64_e64 s[2:3], s[14:15], v[40:41]
	v_mov_b32_e32 v37, 0
	v_mov_b32_e32 v48, 0
	;; [unrolled: 1-line block ×3, first 2 shown]
	s_and_saveexec_b64 s[6:7], s[2:3]
	s_cbranch_execz .LBB3_35
; %bb.34:                               ;   in Loop: Header=BB3_25 Depth=1
	v_mov_b32_e32 v36, s9
	v_add_co_u32_e64 v40, s[4:5], s8, v16
	v_addc_co_u32_e64 v41, s[4:5], v15, v36, s[4:5]
	v_add_co_u32_e64 v52, s[4:5], s8, v14
	v_addc_co_u32_e64 v53, s[4:5], v13, v36, s[4:5]
	global_load_dwordx2 v[36:37], v[52:53], off
	global_load_dwordx2 v[48:49], v[40:41], off
.LBB3_35:                               ;   in Loop: Header=BB3_25 Depth=1
	s_or_b64 exec, exec, s[6:7]
	v_mov_b32_e32 v40, 0
	v_mov_b32_e32 v54, 0
	;; [unrolled: 1-line block ×3, first 2 shown]
	s_and_saveexec_b64 s[6:7], s[2:3]
	s_cbranch_execz .LBB3_37
; %bb.36:                               ;   in Loop: Header=BB3_25 Depth=1
	v_mov_b32_e32 v41, s9
	v_add_co_u32_e64 v52, s[4:5], s8, v18
	v_addc_co_u32_e64 v53, s[4:5], v17, v41, s[4:5]
	global_load_dwordx2 v[54:55], v[52:53], off
.LBB3_37:                               ;   in Loop: Header=BB3_25 Depth=1
	s_or_b64 exec, exec, s[6:7]
	v_mov_b32_e32 v41, s17
	v_add_co_u32_e64 v52, s[4:5], s16, v33
	v_addc_co_u32_e64 v53, s[4:5], v62, v41, s[4:5]
	v_cmp_gt_u64_e64 s[4:5], s[14:15], v[52:53]
	v_mov_b32_e32 v41, 0
	v_mov_b32_e32 v52, 0
	;; [unrolled: 1-line block ×3, first 2 shown]
	s_and_saveexec_b64 s[18:19], s[4:5]
	s_cbranch_execz .LBB3_39
; %bb.38:                               ;   in Loop: Header=BB3_25 Depth=1
	v_mov_b32_e32 v40, s9
	v_add_co_u32_e64 v56, s[6:7], s8, v8
	v_addc_co_u32_e64 v57, s[6:7], v7, v40, s[6:7]
	v_add_co_u32_e64 v58, s[6:7], s8, v6
	v_addc_co_u32_e64 v59, s[6:7], v5, v40, s[6:7]
	global_load_dwordx2 v[40:41], v[58:59], off
	global_load_dwordx2 v[52:53], v[56:57], off
.LBB3_39:                               ;   in Loop: Header=BB3_25 Depth=1
	s_or_b64 exec, exec, s[18:19]
	v_mov_b32_e32 v56, 0
	v_mov_b32_e32 v57, v56
	s_and_saveexec_b64 s[18:19], s[4:5]
	s_cbranch_execz .LBB3_41
; %bb.40:                               ;   in Loop: Header=BB3_25 Depth=1
	v_mov_b32_e32 v57, s9
	v_add_co_u32_e64 v56, s[6:7], s8, v10
	v_addc_co_u32_e64 v57, s[6:7], v9, v57, s[6:7]
	global_load_dwordx2 v[56:57], v[56:57], off
.LBB3_41:                               ;   in Loop: Header=BB3_25 Depth=1
	s_or_b64 exec, exec, s[18:19]
	s_waitcnt vmcnt(0)
	v_pk_mul_f32 v[58:59], v[46:47], v[46:47]
	v_add_f32_e32 v58, v59, v58
	v_cmp_ngt_f32_e64 s[6:7], s23, v58
	v_pk_add_f32 v[60:61], v[42:43], v[38:39] neg_lo:[0,1] neg_hi:[0,1]
                                        ; implicit-def: $vgpr58_vgpr59
	s_and_saveexec_b64 s[18:19], s[6:7]
	s_xor_b64 s[6:7], exec, s[18:19]
; %bb.42:                               ;   in Loop: Header=BB3_25 Depth=1
	v_pk_add_f32 v[38:39], v[46:47], s[12:13] neg_lo:[1,0] neg_hi:[1,0]
	v_pk_mul_f32 v[46:47], v[60:61], v[38:39] op_sel:[1,0]
	v_pk_fma_f32 v[58:59], v[60:61], v[38:39], v[46:47] op_sel:[0,0,1] op_sel_hi:[1,1,0] neg_lo:[0,0,1] neg_hi:[0,0,1]
	v_pk_fma_f32 v[38:39], v[60:61], v[38:39], v[46:47] op_sel:[0,0,1] op_sel_hi:[0,1,0]
	v_mov_b32_e32 v59, v39
	v_pk_add_f32 v[58:59], v[42:43], v[58:59] neg_lo:[0,1] neg_hi:[0,1]
                                        ; implicit-def: $vgpr60_vgpr61
                                        ; implicit-def: $vgpr46_vgpr47
                                        ; implicit-def: $vgpr38_vgpr39
; %bb.43:                               ;   in Loop: Header=BB3_25 Depth=1
	s_andn2_saveexec_b64 s[6:7], s[6:7]
; %bb.44:                               ;   in Loop: Header=BB3_25 Depth=1
	v_pk_mul_f32 v[42:43], v[60:61], v[46:47] op_sel:[1,0]
	v_pk_fma_f32 v[58:59], v[60:61], v[46:47], v[42:43] op_sel:[0,0,1] op_sel_hi:[1,1,0] neg_lo:[0,0,1] neg_hi:[0,0,1]
	v_pk_fma_f32 v[42:43], v[60:61], v[46:47], v[42:43] op_sel:[0,0,1] op_sel_hi:[0,1,0]
	v_mov_b32_e32 v59, v43
	v_pk_add_f32 v[58:59], v[38:39], v[58:59]
; %bb.45:                               ;   in Loop: Header=BB3_25 Depth=1
	s_or_b64 exec, exec, s[6:7]
	v_pk_mul_f32 v[38:39], v[50:51], v[50:51]
	v_add_f32_e32 v38, v39, v38
	v_cmp_ngt_f32_e64 s[6:7], s23, v38
	v_pk_add_f32 v[42:43], v[44:45], v[34:35] neg_lo:[0,1] neg_hi:[0,1]
                                        ; implicit-def: $vgpr38_vgpr39
	s_and_saveexec_b64 s[18:19], s[6:7]
	s_xor_b64 s[6:7], exec, s[18:19]
; %bb.46:                               ;   in Loop: Header=BB3_25 Depth=1
	v_pk_add_f32 v[34:35], v[50:51], s[12:13] neg_lo:[1,0] neg_hi:[1,0]
	v_pk_mul_f32 v[38:39], v[42:43], v[34:35] op_sel:[1,0]
	v_pk_fma_f32 v[46:47], v[42:43], v[34:35], v[38:39] op_sel:[0,0,1] op_sel_hi:[1,1,0] neg_lo:[0,0,1] neg_hi:[0,0,1]
	v_pk_fma_f32 v[34:35], v[42:43], v[34:35], v[38:39] op_sel:[0,0,1] op_sel_hi:[0,1,0]
	v_mov_b32_e32 v47, v35
	v_pk_add_f32 v[38:39], v[44:45], v[46:47] neg_lo:[0,1] neg_hi:[0,1]
                                        ; implicit-def: $vgpr42_vgpr43
                                        ; implicit-def: $vgpr50_vgpr51
                                        ; implicit-def: $vgpr34_vgpr35
; %bb.47:                               ;   in Loop: Header=BB3_25 Depth=1
	s_andn2_saveexec_b64 s[6:7], s[6:7]
; %bb.48:                               ;   in Loop: Header=BB3_25 Depth=1
	v_pk_mul_f32 v[38:39], v[42:43], v[50:51] op_sel:[1,0]
	v_pk_fma_f32 v[44:45], v[42:43], v[50:51], v[38:39] op_sel:[0,0,1] op_sel_hi:[1,1,0] neg_lo:[0,0,1] neg_hi:[0,0,1]
	v_pk_fma_f32 v[38:39], v[42:43], v[50:51], v[38:39] op_sel:[0,0,1] op_sel_hi:[0,1,0]
	v_mov_b32_e32 v45, v39
	v_pk_add_f32 v[38:39], v[34:35], v[44:45]
; %bb.49:                               ;   in Loop: Header=BB3_25 Depth=1
	s_or_b64 exec, exec, s[6:7]
	v_pk_mul_f32 v[34:35], v[54:55], v[54:55]
	v_add_f32_e32 v34, v35, v34
	v_cmp_ngt_f32_e64 s[6:7], s23, v34
	v_pk_add_f32 v[42:43], v[48:49], v[36:37] neg_lo:[0,1] neg_hi:[0,1]
                                        ; implicit-def: $vgpr34_vgpr35
	s_and_saveexec_b64 s[18:19], s[6:7]
	s_xor_b64 s[6:7], exec, s[18:19]
; %bb.50:                               ;   in Loop: Header=BB3_25 Depth=1
	v_pk_add_f32 v[34:35], v[54:55], s[12:13] neg_lo:[1,0] neg_hi:[1,0]
	v_pk_mul_f32 v[36:37], v[42:43], v[34:35] op_sel:[1,0]
	v_pk_fma_f32 v[44:45], v[42:43], v[34:35], v[36:37] op_sel:[0,0,1] op_sel_hi:[1,1,0] neg_lo:[0,0,1] neg_hi:[0,0,1]
	v_pk_fma_f32 v[34:35], v[42:43], v[34:35], v[36:37] op_sel:[0,0,1] op_sel_hi:[0,1,0]
	v_mov_b32_e32 v45, v35
	v_pk_add_f32 v[34:35], v[48:49], v[44:45] neg_lo:[0,1] neg_hi:[0,1]
                                        ; implicit-def: $vgpr42_vgpr43
                                        ; implicit-def: $vgpr54_vgpr55
                                        ; implicit-def: $vgpr36_vgpr37
; %bb.51:                               ;   in Loop: Header=BB3_25 Depth=1
	s_andn2_saveexec_b64 s[6:7], s[6:7]
; %bb.52:                               ;   in Loop: Header=BB3_25 Depth=1
	v_pk_mul_f32 v[34:35], v[42:43], v[54:55] op_sel:[1,0]
	v_pk_fma_f32 v[44:45], v[42:43], v[54:55], v[34:35] op_sel:[0,0,1] op_sel_hi:[1,1,0] neg_lo:[0,0,1] neg_hi:[0,0,1]
	v_pk_fma_f32 v[34:35], v[42:43], v[54:55], v[34:35] op_sel:[0,0,1] op_sel_hi:[0,1,0]
	v_mov_b32_e32 v45, v35
	v_pk_add_f32 v[34:35], v[36:37], v[44:45]
; %bb.53:                               ;   in Loop: Header=BB3_25 Depth=1
	s_or_b64 exec, exec, s[6:7]
	v_pk_mul_f32 v[36:37], v[56:57], v[56:57]
	v_add_f32_e32 v36, v37, v36
	v_cmp_ngt_f32_e64 s[6:7], s23, v36
	v_pk_add_f32 v[42:43], v[52:53], v[40:41] neg_lo:[0,1] neg_hi:[0,1]
                                        ; implicit-def: $vgpr36_vgpr37
	s_and_saveexec_b64 s[18:19], s[6:7]
	s_xor_b64 s[6:7], exec, s[18:19]
	s_cbranch_execnz .LBB3_59
; %bb.54:                               ;   in Loop: Header=BB3_25 Depth=1
	s_andn2_saveexec_b64 s[6:7], s[6:7]
	s_cbranch_execnz .LBB3_60
.LBB3_55:                               ;   in Loop: Header=BB3_25 Depth=1
	s_or_b64 exec, exec, s[6:7]
	s_and_saveexec_b64 s[6:7], vcc
	s_xor_b64 s[6:7], exec, s[6:7]
	s_cbranch_execnz .LBB3_61
.LBB3_56:                               ;   in Loop: Header=BB3_25 Depth=1
	s_or_b64 exec, exec, s[6:7]
	s_and_saveexec_b64 s[6:7], s[0:1]
	s_cbranch_execnz .LBB3_62
.LBB3_57:                               ;   in Loop: Header=BB3_25 Depth=1
	s_or_b64 exec, exec, s[6:7]
	s_and_saveexec_b64 s[0:1], s[2:3]
	s_cbranch_execnz .LBB3_63
.LBB3_58:                               ;   in Loop: Header=BB3_25 Depth=1
	s_or_b64 exec, exec, s[0:1]
	s_and_saveexec_b64 s[0:1], s[4:5]
	s_cbranch_execz .LBB3_24
	s_branch .LBB3_64
.LBB3_59:                               ;   in Loop: Header=BB3_25 Depth=1
	v_pk_add_f32 v[36:37], v[56:57], s[12:13] neg_lo:[1,0] neg_hi:[1,0]
	v_pk_mul_f32 v[40:41], v[42:43], v[36:37] op_sel:[1,0]
	v_pk_fma_f32 v[44:45], v[42:43], v[36:37], v[40:41] op_sel:[0,0,1] op_sel_hi:[1,1,0] neg_lo:[0,0,1] neg_hi:[0,0,1]
	v_pk_fma_f32 v[36:37], v[42:43], v[36:37], v[40:41] op_sel:[0,0,1] op_sel_hi:[0,1,0]
	v_mov_b32_e32 v45, v37
	v_pk_add_f32 v[36:37], v[52:53], v[44:45] neg_lo:[0,1] neg_hi:[0,1]
                                        ; implicit-def: $vgpr42_vgpr43
                                        ; implicit-def: $vgpr56_vgpr57
                                        ; implicit-def: $vgpr40_vgpr41
	s_andn2_saveexec_b64 s[6:7], s[6:7]
	s_cbranch_execz .LBB3_55
.LBB3_60:                               ;   in Loop: Header=BB3_25 Depth=1
	v_pk_mul_f32 v[36:37], v[42:43], v[56:57] op_sel:[1,0]
	v_pk_fma_f32 v[44:45], v[42:43], v[56:57], v[36:37] op_sel:[0,0,1] op_sel_hi:[1,1,0] neg_lo:[0,0,1] neg_hi:[0,0,1]
	v_pk_fma_f32 v[36:37], v[42:43], v[56:57], v[36:37] op_sel:[0,0,1] op_sel_hi:[0,1,0]
	v_mov_b32_e32 v45, v37
	v_pk_add_f32 v[36:37], v[40:41], v[44:45]
	s_or_b64 exec, exec, s[6:7]
	s_and_saveexec_b64 s[6:7], vcc
	s_xor_b64 s[6:7], exec, s[6:7]
	s_cbranch_execz .LBB3_56
.LBB3_61:                               ;   in Loop: Header=BB3_25 Depth=1
	v_mov_b32_e32 v41, s9
	v_add_co_u32_e32 v40, vcc, s8, v30
	v_addc_co_u32_e32 v41, vcc, v29, v41, vcc
	global_store_dwordx2 v[40:41], v[58:59], off
	s_or_b64 exec, exec, s[6:7]
	s_and_saveexec_b64 s[6:7], s[0:1]
	s_cbranch_execz .LBB3_57
.LBB3_62:                               ;   in Loop: Header=BB3_25 Depth=1
	v_mov_b32_e32 v41, s9
	v_add_co_u32_e32 v40, vcc, s8, v32
	v_addc_co_u32_e32 v41, vcc, v31, v41, vcc
	global_store_dwordx2 v[40:41], v[38:39], off
	s_or_b64 exec, exec, s[6:7]
	s_and_saveexec_b64 s[0:1], s[2:3]
	s_cbranch_execz .LBB3_58
.LBB3_63:                               ;   in Loop: Header=BB3_25 Depth=1
	v_mov_b32_e32 v39, s9
	v_add_co_u32_e32 v38, vcc, s8, v20
	v_addc_co_u32_e32 v39, vcc, v19, v39, vcc
	global_store_dwordx2 v[38:39], v[34:35], off
	s_or_b64 exec, exec, s[0:1]
	s_and_saveexec_b64 s[0:1], s[4:5]
	s_cbranch_execz .LBB3_24
.LBB3_64:                               ;   in Loop: Header=BB3_25 Depth=1
	v_mov_b32_e32 v35, s9
	v_add_co_u32_e32 v34, vcc, s8, v12
	v_addc_co_u32_e32 v35, vcc, v11, v35, vcc
	global_store_dwordx2 v[34:35], v[36:37], off
	s_branch .LBB3_24
.LBB3_65:
	s_endpgm
	.section	.rodata,"a",@progbits
	.p2align	6, 0x0
	.amdhsa_kernel _ZN2at6native12_GLOBAL__N_125multi_tensor_apply_kernelINS1_18TensorListMetadataILi4EEENS1_20TernaryOpListFunctorIN3c107complexIfEELi4ELi3ELi3EEEJNS0_11LerpFunctorIS8_EEEEEvT_T0_DpT1_
		.amdhsa_group_segment_fixed_size 0
		.amdhsa_private_segment_fixed_size 0
		.amdhsa_kernarg_size 3312
		.amdhsa_user_sgpr_count 6
		.amdhsa_user_sgpr_private_segment_buffer 1
		.amdhsa_user_sgpr_dispatch_ptr 0
		.amdhsa_user_sgpr_queue_ptr 0
		.amdhsa_user_sgpr_kernarg_segment_ptr 1
		.amdhsa_user_sgpr_dispatch_id 0
		.amdhsa_user_sgpr_flat_scratch_init 0
		.amdhsa_user_sgpr_kernarg_preload_length 0
		.amdhsa_user_sgpr_kernarg_preload_offset 0
		.amdhsa_user_sgpr_private_segment_size 0
		.amdhsa_uses_dynamic_stack 0
		.amdhsa_system_sgpr_private_segment_wavefront_offset 0
		.amdhsa_system_sgpr_workgroup_id_x 1
		.amdhsa_system_sgpr_workgroup_id_y 0
		.amdhsa_system_sgpr_workgroup_id_z 0
		.amdhsa_system_sgpr_workgroup_info 0
		.amdhsa_system_vgpr_workitem_id 0
		.amdhsa_next_free_vgpr 67
		.amdhsa_next_free_sgpr 35
		.amdhsa_accum_offset 68
		.amdhsa_reserve_vcc 1
		.amdhsa_reserve_flat_scratch 0
		.amdhsa_float_round_mode_32 0
		.amdhsa_float_round_mode_16_64 0
		.amdhsa_float_denorm_mode_32 3
		.amdhsa_float_denorm_mode_16_64 3
		.amdhsa_dx10_clamp 1
		.amdhsa_ieee_mode 1
		.amdhsa_fp16_overflow 0
		.amdhsa_tg_split 0
		.amdhsa_exception_fp_ieee_invalid_op 0
		.amdhsa_exception_fp_denorm_src 0
		.amdhsa_exception_fp_ieee_div_zero 0
		.amdhsa_exception_fp_ieee_overflow 0
		.amdhsa_exception_fp_ieee_underflow 0
		.amdhsa_exception_fp_ieee_inexact 0
		.amdhsa_exception_int_div_zero 0
	.end_amdhsa_kernel
	.section	.text._ZN2at6native12_GLOBAL__N_125multi_tensor_apply_kernelINS1_18TensorListMetadataILi4EEENS1_20TernaryOpListFunctorIN3c107complexIfEELi4ELi3ELi3EEEJNS0_11LerpFunctorIS8_EEEEEvT_T0_DpT1_,"axG",@progbits,_ZN2at6native12_GLOBAL__N_125multi_tensor_apply_kernelINS1_18TensorListMetadataILi4EEENS1_20TernaryOpListFunctorIN3c107complexIfEELi4ELi3ELi3EEEJNS0_11LerpFunctorIS8_EEEEEvT_T0_DpT1_,comdat
.Lfunc_end3:
	.size	_ZN2at6native12_GLOBAL__N_125multi_tensor_apply_kernelINS1_18TensorListMetadataILi4EEENS1_20TernaryOpListFunctorIN3c107complexIfEELi4ELi3ELi3EEEJNS0_11LerpFunctorIS8_EEEEEvT_T0_DpT1_, .Lfunc_end3-_ZN2at6native12_GLOBAL__N_125multi_tensor_apply_kernelINS1_18TensorListMetadataILi4EEENS1_20TernaryOpListFunctorIN3c107complexIfEELi4ELi3ELi3EEEJNS0_11LerpFunctorIS8_EEEEEvT_T0_DpT1_
                                        ; -- End function
	.section	.AMDGPU.csdata,"",@progbits
; Kernel info:
; codeLenInByte = 2864
; NumSgprs: 39
; NumVgprs: 67
; NumAgprs: 0
; TotalNumVgprs: 67
; ScratchSize: 0
; MemoryBound: 1
; FloatMode: 240
; IeeeMode: 1
; LDSByteSize: 0 bytes/workgroup (compile time only)
; SGPRBlocks: 4
; VGPRBlocks: 8
; NumSGPRsForWavesPerEU: 39
; NumVGPRsForWavesPerEU: 67
; AccumOffset: 68
; Occupancy: 7
; WaveLimiterHint : 0
; COMPUTE_PGM_RSRC2:SCRATCH_EN: 0
; COMPUTE_PGM_RSRC2:USER_SGPR: 6
; COMPUTE_PGM_RSRC2:TRAP_HANDLER: 0
; COMPUTE_PGM_RSRC2:TGID_X_EN: 1
; COMPUTE_PGM_RSRC2:TGID_Y_EN: 0
; COMPUTE_PGM_RSRC2:TGID_Z_EN: 0
; COMPUTE_PGM_RSRC2:TIDIG_COMP_CNT: 0
; COMPUTE_PGM_RSRC3_GFX90A:ACCUM_OFFSET: 16
; COMPUTE_PGM_RSRC3_GFX90A:TG_SPLIT: 0
	.section	.text._ZN2at6native12_GLOBAL__N_125multi_tensor_apply_kernelINS1_18TensorListMetadataILi4EEENS1_20TernaryOpListFunctorIN3c104HalfELi4ELi3ELi3EEEJNS0_11LerpFunctorIfEEEEEvT_T0_DpT1_,"axG",@progbits,_ZN2at6native12_GLOBAL__N_125multi_tensor_apply_kernelINS1_18TensorListMetadataILi4EEENS1_20TernaryOpListFunctorIN3c104HalfELi4ELi3ELi3EEEJNS0_11LerpFunctorIfEEEEEvT_T0_DpT1_,comdat
	.globl	_ZN2at6native12_GLOBAL__N_125multi_tensor_apply_kernelINS1_18TensorListMetadataILi4EEENS1_20TernaryOpListFunctorIN3c104HalfELi4ELi3ELi3EEEJNS0_11LerpFunctorIfEEEEEvT_T0_DpT1_ ; -- Begin function _ZN2at6native12_GLOBAL__N_125multi_tensor_apply_kernelINS1_18TensorListMetadataILi4EEENS1_20TernaryOpListFunctorIN3c104HalfELi4ELi3ELi3EEEJNS0_11LerpFunctorIfEEEEEvT_T0_DpT1_
	.p2align	8
	.type	_ZN2at6native12_GLOBAL__N_125multi_tensor_apply_kernelINS1_18TensorListMetadataILi4EEENS1_20TernaryOpListFunctorIN3c104HalfELi4ELi3ELi3EEEJNS0_11LerpFunctorIfEEEEEvT_T0_DpT1_,@function
_ZN2at6native12_GLOBAL__N_125multi_tensor_apply_kernelINS1_18TensorListMetadataILi4EEENS1_20TernaryOpListFunctorIN3c104HalfELi4ELi3ELi3EEEJNS0_11LerpFunctorIfEEEEEvT_T0_DpT1_: ; @_ZN2at6native12_GLOBAL__N_125multi_tensor_apply_kernelINS1_18TensorListMetadataILi4EEENS1_20TernaryOpListFunctorIN3c104HalfELi4ELi3ELi3EEEJNS0_11LerpFunctorIfEEEEEvT_T0_DpT1_
; %bb.0:
	v_mov_b32_e32 v1, s6
	global_load_ubyte v1, v1, s[4:5] offset:1440
	s_add_u32 s0, s4, s6
	s_mul_hi_u32 s2, s6, 3
	s_mul_i32 s6, s6, 3
	s_addc_u32 s7, s5, 0
	s_add_u32 s6, s0, s6
	s_addc_u32 s7, s7, s2
	s_load_dword s6, s[6:7], 0x6e0
	s_mov_b32 s1, 0
	s_mov_b32 s3, s1
	;; [unrolled: 1-line block ×3, first 2 shown]
	s_waitcnt lgkmcnt(0)
	s_ashr_i32 s7, s6, 31
	s_lshl_b64 s[8:9], s[6:7], 17
	s_waitcnt vmcnt(0)
	v_readfirstlane_b32 s0, v1
	s_lshl_b32 s0, s0, 3
	s_load_dwordx2 s[22:23], s[4:5], s0 offset:0x480
	s_load_dwordx2 s[14:15], s[4:5], s0 offset:0x0
	s_load_dwordx2 s[20:21], s[4:5], s0 offset:0x120
	s_load_dwordx2 s[18:19], s[4:5], s0 offset:0x240
	s_load_dwordx2 s[16:17], s[4:5], s0 offset:0x360
	s_waitcnt lgkmcnt(0)
	s_and_b32 s0, s14, 7
	s_add_u32 s2, s20, s8
	s_and_b32 s2, s2, 7
	s_cmp_lg_u64 s[2:3], 0
	s_cselect_b64 s[2:3], -1, 0
	s_add_u32 s10, s18, s8
	s_or_b32 s10, s16, s10
	s_and_b32 s10, s10, 7
	s_cmp_lg_u32 s10, 0
	s_cselect_b64 s[10:11], -1, 0
	s_lshl_b64 s[6:7], s[6:7], 16
	s_or_b64 s[2:3], s[10:11], s[2:3]
	s_sub_u32 s10, s22, s6
	s_subb_u32 s11, s23, s7
	s_and_b32 s12, s22, 3
	s_or_b64 s[6:7], s[0:1], s[12:13]
	s_cmp_lg_u64 s[6:7], 0
	s_cselect_b64 s[6:7], -1, 0
	s_or_b64 s[2:3], s[2:3], s[6:7]
	s_andn2_b64 vcc, exec, s[2:3]
	s_mov_b64 s[2:3], -1
	s_cbranch_vccz .LBB4_5
; %bb.1:
	v_mov_b32_e32 v3, 0
	v_lshlrev_b32_e32 v2, 2, v0
	v_cmp_gt_i64_e32 vcc, s[10:11], v[2:3]
	s_and_saveexec_b64 s[12:13], vcc
	s_cbranch_execz .LBB4_4
; %bb.2:
	s_load_dword s0, s[4:5], 0xbfc
	v_lshlrev_b32_e32 v1, 3, v0
	v_mov_b32_e32 v2, s9
	v_add_co_u32_e32 v4, vcc, s8, v1
	s_waitcnt lgkmcnt(0)
	s_and_b32 s0, s0, 0xffff
	v_addc_co_u32_e32 v1, vcc, 0, v2, vcc
	s_lshl_b32 s26, s0, 3
	v_add_lshl_u32 v2, v0, s0, 2
	s_lshl_b32 s27, s0, 2
	s_mov_b64 s[22:23], 0
	v_mov_b32_e32 v5, s15
	v_mov_b32_e32 v6, s21
	;; [unrolled: 1-line block ×4, first 2 shown]
	s_mov_b64 s[24:25], 0xffff
	v_mov_b32_e32 v9, s1
	v_mov_b32_e32 v10, s1
.LBB4_3:                                ; =>This Inner Loop Header: Depth=1
	v_add_co_u32_e32 v12, vcc, s14, v4
	v_addc_co_u32_e32 v13, vcc, v5, v1, vcc
	v_add_co_u32_e32 v14, vcc, s20, v4
	v_addc_co_u32_e32 v15, vcc, v6, v1, vcc
	;; [unrolled: 2-line block ×3, first 2 shown]
	global_load_dwordx2 v[18:19], v[12:13], off
	global_load_dwordx2 v[20:21], v[14:15], off
	;; [unrolled: 1-line block ×3, first 2 shown]
	v_add_co_u32_e32 v12, vcc, s16, v4
	v_add_co_u32_e64 v4, s[2:3], s26, v4
	v_addc_co_u32_e32 v13, vcc, v8, v1, vcc
	v_addc_co_u32_e64 v1, s[2:3], v1, v9, s[2:3]
	v_cmp_le_i64_e32 vcc, s[10:11], v[2:3]
	v_cmp_lt_u64_e64 s[0:1], s[24:25], v[2:3]
	v_add_co_u32_e64 v2, s[2:3], s27, v2
	v_addc_co_u32_e64 v3, s[2:3], v3, v10, s[2:3]
	s_or_b64 s[28:29], vcc, s[0:1]
	s_waitcnt vmcnt(2)
	v_cvt_f32_f16_sdwa v15, v19 dst_sel:DWORD dst_unused:UNUSED_PAD src0_sel:WORD_1
	v_cvt_f32_f16_e32 v14, v19
	v_cvt_f32_f16_sdwa v17, v18 dst_sel:DWORD dst_unused:UNUSED_PAD src0_sel:WORD_1
	v_cvt_f32_f16_e32 v16, v18
	s_waitcnt vmcnt(1)
	v_cvt_f32_f16_sdwa v19, v21 dst_sel:DWORD dst_unused:UNUSED_PAD src0_sel:WORD_1
	v_cvt_f32_f16_e32 v18, v21
	v_cvt_f32_f16_sdwa v21, v20 dst_sel:DWORD dst_unused:UNUSED_PAD src0_sel:WORD_1
	v_cvt_f32_f16_e32 v20, v20
	s_waitcnt vmcnt(0)
	v_cvt_f32_f16_e32 v24, v22
	v_cvt_f32_f16_sdwa v25, v22 dst_sel:DWORD dst_unused:UNUSED_PAD src0_sel:WORD_1
	v_cvt_f32_f16_e32 v22, v23
	v_cvt_f32_f16_sdwa v23, v23 dst_sel:DWORD dst_unused:UNUSED_PAD src0_sel:WORD_1
	v_sub_f32_e32 v26, v20, v16
	v_sub_f32_e32 v27, v21, v17
	;; [unrolled: 1-line block ×4, first 2 shown]
	v_sub_f32_e32 v30, 1.0, v24
	v_sub_f32_e32 v31, 1.0, v25
	;; [unrolled: 1-line block ×4, first 2 shown]
	v_pk_fma_f32 v[14:15], v[28:29], v[22:23], v[14:15]
	v_pk_fma_f32 v[16:17], v[26:27], v[24:25], v[16:17]
	v_xor_b32_e32 v28, 0x80000000, v28
	v_xor_b32_e32 v29, 0x80000000, v29
	;; [unrolled: 1-line block ×4, first 2 shown]
	v_pk_fma_f32 v[18:19], v[28:29], v[32:33], v[18:19]
	v_cmp_lt_f32_e64 vcc, |v23|, 0.5
	v_cmp_lt_f32_e64 s[0:1], |v22|, 0.5
	v_pk_fma_f32 v[20:21], v[26:27], v[30:31], v[20:21]
	v_cmp_lt_f32_e64 s[2:3], |v25|, 0.5
	v_cmp_lt_f32_e64 s[6:7], |v24|, 0.5
	v_cndmask_b32_e64 v11, v20, v16, s[6:7]
	v_cndmask_b32_e64 v16, v21, v17, s[2:3]
	;; [unrolled: 1-line block ×3, first 2 shown]
	v_cndmask_b32_e32 v15, v19, v15, vcc
	v_cvt_f16_f32_e32 v15, v15
	v_cvt_f16_f32_e32 v14, v14
	;; [unrolled: 1-line block ×4, first 2 shown]
	s_and_b64 s[0:1], exec, s[28:29]
	s_or_b64 s[22:23], s[0:1], s[22:23]
	v_pack_b32_f16 v15, v14, v15
	v_pack_b32_f16 v14, v11, v16
	global_store_dwordx2 v[12:13], v[14:15], off
	s_andn2_b64 exec, exec, s[22:23]
	s_cbranch_execnz .LBB4_3
.LBB4_4:
	s_or_b64 exec, exec, s[12:13]
	s_mov_b64 s[2:3], 0
.LBB4_5:
	s_andn2_b64 vcc, exec, s[2:3]
	s_cbranch_vccnz .LBB4_33
; %bb.6:
	v_cmp_lt_i64_e64 s[0:1], s[10:11], 1
	s_and_b64 vcc, exec, s[0:1]
	s_cbranch_vccnz .LBB4_33
; %bb.7:
	s_load_dword s0, s[4:5], 0xbfc
	v_mov_b32_e32 v19, 0
	v_lshlrev_b32_e32 v18, 1, v0
	v_mov_b32_e32 v21, s15
	v_mov_b32_e32 v23, s21
	s_waitcnt lgkmcnt(0)
	s_and_b32 s4, s0, 0xffff
	v_mad_u64_u32 v[16:17], s[2:3], s4, 6, v[18:19]
	v_add_co_u32_e64 v10, s[2:3], s14, v16
	v_addc_co_u32_e64 v5, s[2:3], v21, v17, s[2:3]
	v_add_co_u32_e64 v12, s[2:3], s20, v16
	v_addc_co_u32_e64 v7, s[2:3], v23, v17, s[2:3]
	v_mov_b32_e32 v27, s19
	v_add_co_u32_e64 v14, s[2:3], s18, v16
	v_mov_b32_e32 v2, 0x10000
	v_addc_co_u32_e64 v9, s[2:3], v27, v17, s[2:3]
	v_mov_b32_e32 v3, 0
	v_mov_b32_e32 v31, s17
	v_add_co_u32_e64 v16, s[2:3], s16, v16
	v_cmp_lt_u64_e32 vcc, s[10:11], v[2:3]
	s_mul_i32 s6, s4, 3
	v_addc_co_u32_e64 v11, s[2:3], v31, v17, s[2:3]
	s_and_b64 s[0:1], vcc, exec
	v_add_co_u32_e32 v2, vcc, s14, v18
	v_add_co_u32_e64 v33, s[2:3], s6, v0
	s_cselect_b32 s13, s11, 0
	s_cselect_b32 s12, s10, 0x10000
	s_lshl_b32 s23, s4, 2
	v_addc_co_u32_e32 v1, vcc, 0, v21, vcc
	v_addc_co_u32_e64 v34, s[2:3], 0, 0, s[2:3]
	v_add_co_u32_e32 v4, vcc, s20, v18
	v_add_co_u32_e64 v19, s[2:3], s23, v18
	v_addc_co_u32_e32 v3, vcc, 0, v23, vcc
	v_addc_co_u32_e64 v25, s[2:3], 0, 0, s[2:3]
	v_add_co_u32_e32 v6, vcc, s18, v18
	v_add_co_u32_e64 v8, s[0:1], s16, v18
	v_add_co_u32_e64 v18, s[2:3], s14, v19
	v_addc_co_u32_e64 v13, s[2:3], v21, v25, s[2:3]
	v_add_co_u32_e64 v20, s[2:3], s20, v19
	v_addc_co_u32_e64 v15, s[2:3], v23, v25, s[2:3]
	;; [unrolled: 2-line block ×3, first 2 shown]
	v_add_co_u32_e64 v24, s[2:3], s16, v19
	s_lshl_b32 s5, s4, 1
	v_addc_co_u32_e64 v19, s[2:3], v31, v25, s[2:3]
	v_add_co_u32_e64 v35, s[2:3], s5, v0
	v_addc_co_u32_e64 v36, s[2:3], 0, 0, s[2:3]
	v_add_co_u32_e64 v37, s[2:3], s4, v0
	v_addc_co_u32_e64 v38, s[2:3], 0, 0, s[2:3]
	v_lshlrev_b32_e32 v29, 1, v37
	v_addc_co_u32_e32 v25, vcc, 0, v27, vcc
	v_add_co_u32_e64 v26, s[2:3], s14, v29
	v_add_co_u32_e32 v30, vcc, s18, v29
	v_addc_co_u32_e64 v21, s[2:3], 0, v21, s[2:3]
	v_addc_co_u32_e32 v27, vcc, 0, v27, vcc
	v_add_co_u32_e64 v28, s[2:3], s20, v29
	v_add_co_u32_e32 v32, vcc, s16, v29
	s_mov_b32 s22, 0
	s_lshl_b32 s24, s4, 3
	s_mov_b64 s[14:15], 0
	v_addc_co_u32_e64 v23, s[2:3], 0, v23, s[2:3]
	v_addc_co_u32_e64 v29, s[0:1], 0, v31, s[0:1]
	v_addc_co_u32_e32 v31, vcc, 0, v31, vcc
	s_branch .LBB4_9
.LBB4_8:                                ;   in Loop: Header=BB4_9 Depth=1
	s_or_b64 exec, exec, s[0:1]
	s_waitcnt vmcnt(1)
	v_mov_b32_e32 v39, s22
	v_add_co_u32_e64 v2, s[2:3], s24, v2
	v_addc_co_u32_e64 v1, s[2:3], v1, v39, s[2:3]
	v_add_co_u32_e64 v4, s[2:3], s24, v4
	v_addc_co_u32_e64 v3, s[2:3], v3, v39, s[2:3]
	;; [unrolled: 2-line block ×12, first 2 shown]
	v_add_co_u32_e64 v26, s[2:3], s24, v26
	s_add_u32 s14, s14, s23
	v_addc_co_u32_e64 v21, s[2:3], v21, v39, s[2:3]
	s_addc_u32 s15, s15, 0
	s_waitcnt vmcnt(0)
	v_pk_mov_b32 v[40:41], s[10:11], s[10:11] op_sel:[0,1]
	v_add_co_u32_e64 v28, s[2:3], s24, v28
	v_cmp_ge_i64_e32 vcc, s[14:15], v[40:41]
	v_mov_b32_e32 v40, 0xffff
	v_addc_co_u32_e64 v23, s[2:3], v23, v39, s[2:3]
	v_mov_b32_e32 v41, 0
	v_add_co_u32_e64 v30, s[2:3], s24, v30
	v_cmp_gt_u64_e64 s[0:1], s[14:15], v[40:41]
	v_addc_co_u32_e64 v27, s[2:3], v27, v39, s[2:3]
	v_add_co_u32_e64 v32, s[2:3], s24, v32
	s_or_b64 s[0:1], vcc, s[0:1]
	v_addc_co_u32_e64 v31, s[2:3], v31, v39, s[2:3]
	s_and_b64 vcc, exec, s[0:1]
	s_cbranch_vccnz .LBB4_33
.LBB4_9:                                ; =>This Inner Loop Header: Depth=1
	v_mov_b32_e32 v39, s15
	v_add_co_u32_e32 v40, vcc, s14, v0
	v_addc_co_u32_e32 v41, vcc, 0, v39, vcc
	v_cmp_gt_u64_e32 vcc, s[12:13], v[40:41]
	v_mov_b32_e32 v39, 0
	v_mov_b32_e32 v40, 0
	s_and_saveexec_b64 s[2:3], vcc
	s_cbranch_execz .LBB4_11
; %bb.10:                               ;   in Loop: Header=BB4_9 Depth=1
	v_mov_b32_e32 v39, s9
	v_add_co_u32_e64 v42, s[0:1], s8, v4
	v_addc_co_u32_e64 v43, s[0:1], v3, v39, s[0:1]
	v_add_co_u32_e64 v44, s[0:1], s8, v2
	v_addc_co_u32_e64 v45, s[0:1], v1, v39, s[0:1]
	global_load_ushort v39, v[44:45], off
	global_load_ushort v40, v[42:43], off
.LBB4_11:                               ;   in Loop: Header=BB4_9 Depth=1
	s_or_b64 exec, exec, s[2:3]
	v_mov_b32_e32 v41, 0
	v_mov_b32_e32 v42, 0
	s_and_saveexec_b64 s[2:3], vcc
	s_cbranch_execz .LBB4_13
; %bb.12:                               ;   in Loop: Header=BB4_9 Depth=1
	v_mov_b32_e32 v43, s9
	v_add_co_u32_e64 v42, s[0:1], s8, v6
	v_addc_co_u32_e64 v43, s[0:1], v25, v43, s[0:1]
	global_load_ushort v42, v[42:43], off
.LBB4_13:                               ;   in Loop: Header=BB4_9 Depth=1
	s_or_b64 exec, exec, s[2:3]
	v_mov_b32_e32 v43, s15
	v_add_co_u32_e64 v44, s[0:1], s14, v37
	v_addc_co_u32_e64 v45, s[0:1], v38, v43, s[0:1]
	v_cmp_gt_u64_e64 s[0:1], s[12:13], v[44:45]
	v_mov_b32_e32 v43, 0
	s_and_saveexec_b64 s[4:5], s[0:1]
	s_cbranch_execz .LBB4_15
; %bb.14:                               ;   in Loop: Header=BB4_9 Depth=1
	v_mov_b32_e32 v41, s9
	v_add_co_u32_e64 v44, s[2:3], s8, v28
	v_addc_co_u32_e64 v45, s[2:3], v23, v41, s[2:3]
	v_add_co_u32_e64 v46, s[2:3], s8, v26
	v_addc_co_u32_e64 v47, s[2:3], v21, v41, s[2:3]
	global_load_ushort v41, v[46:47], off
	global_load_ushort v43, v[44:45], off
.LBB4_15:                               ;   in Loop: Header=BB4_9 Depth=1
	s_or_b64 exec, exec, s[4:5]
	v_mov_b32_e32 v44, 0
	v_mov_b32_e32 v45, 0
	s_and_saveexec_b64 s[4:5], s[0:1]
	s_cbranch_execz .LBB4_17
; %bb.16:                               ;   in Loop: Header=BB4_9 Depth=1
	v_mov_b32_e32 v45, s9
	v_add_co_u32_e64 v46, s[2:3], s8, v30
	v_addc_co_u32_e64 v47, s[2:3], v27, v45, s[2:3]
	global_load_ushort v45, v[46:47], off
.LBB4_17:                               ;   in Loop: Header=BB4_9 Depth=1
	s_or_b64 exec, exec, s[4:5]
	v_mov_b32_e32 v47, s15
	v_add_co_u32_e64 v46, s[2:3], s14, v35
	v_addc_co_u32_e64 v47, s[2:3], v36, v47, s[2:3]
	v_cmp_gt_u64_e64 s[2:3], s[12:13], v[46:47]
	v_mov_b32_e32 v46, 0
	s_and_saveexec_b64 s[6:7], s[2:3]
	s_cbranch_execz .LBB4_19
; %bb.18:                               ;   in Loop: Header=BB4_9 Depth=1
	v_mov_b32_e32 v44, s9
	v_add_co_u32_e64 v48, s[4:5], s8, v20
	v_addc_co_u32_e64 v49, s[4:5], v15, v44, s[4:5]
	v_add_co_u32_e64 v50, s[4:5], s8, v18
	v_addc_co_u32_e64 v51, s[4:5], v13, v44, s[4:5]
	global_load_ushort v44, v[50:51], off
	global_load_ushort v46, v[48:49], off
.LBB4_19:                               ;   in Loop: Header=BB4_9 Depth=1
	s_or_b64 exec, exec, s[6:7]
	v_mov_b32_e32 v47, 0
	v_mov_b32_e32 v48, 0
	s_and_saveexec_b64 s[6:7], s[2:3]
	s_cbranch_execz .LBB4_21
; %bb.20:                               ;   in Loop: Header=BB4_9 Depth=1
	v_mov_b32_e32 v49, s9
	v_add_co_u32_e64 v48, s[4:5], s8, v22
	v_addc_co_u32_e64 v49, s[4:5], v17, v49, s[4:5]
	global_load_ushort v48, v[48:49], off
.LBB4_21:                               ;   in Loop: Header=BB4_9 Depth=1
	s_or_b64 exec, exec, s[6:7]
	v_mov_b32_e32 v49, s15
	v_add_co_u32_e64 v50, s[4:5], s14, v33
	v_addc_co_u32_e64 v51, s[4:5], v34, v49, s[4:5]
	v_cmp_gt_u64_e64 s[4:5], s[12:13], v[50:51]
	v_mov_b32_e32 v49, 0
	s_and_saveexec_b64 s[16:17], s[4:5]
	s_cbranch_execnz .LBB4_27
; %bb.22:                               ;   in Loop: Header=BB4_9 Depth=1
	s_or_b64 exec, exec, s[16:17]
	v_mov_b32_e32 v50, 0
	s_and_saveexec_b64 s[16:17], s[4:5]
	s_cbranch_execnz .LBB4_28
.LBB4_23:                               ;   in Loop: Header=BB4_9 Depth=1
	s_or_b64 exec, exec, s[16:17]
	s_and_saveexec_b64 s[6:7], vcc
	s_cbranch_execnz .LBB4_29
.LBB4_24:                               ;   in Loop: Header=BB4_9 Depth=1
	s_or_b64 exec, exec, s[6:7]
	s_and_saveexec_b64 s[6:7], s[0:1]
	s_cbranch_execnz .LBB4_30
.LBB4_25:                               ;   in Loop: Header=BB4_9 Depth=1
	s_or_b64 exec, exec, s[6:7]
	s_and_saveexec_b64 s[0:1], s[2:3]
	s_cbranch_execnz .LBB4_31
.LBB4_26:                               ;   in Loop: Header=BB4_9 Depth=1
	s_or_b64 exec, exec, s[0:1]
	s_and_saveexec_b64 s[0:1], s[4:5]
	s_cbranch_execz .LBB4_8
	s_branch .LBB4_32
.LBB4_27:                               ;   in Loop: Header=BB4_9 Depth=1
	v_mov_b32_e32 v47, s9
	v_add_co_u32_e64 v50, s[6:7], s8, v12
	v_addc_co_u32_e64 v51, s[6:7], v7, v47, s[6:7]
	v_add_co_u32_e64 v52, s[6:7], s8, v10
	v_addc_co_u32_e64 v53, s[6:7], v5, v47, s[6:7]
	global_load_ushort v47, v[52:53], off
	global_load_ushort v49, v[50:51], off
	s_or_b64 exec, exec, s[16:17]
	v_mov_b32_e32 v50, 0
	s_and_saveexec_b64 s[16:17], s[4:5]
	s_cbranch_execz .LBB4_23
.LBB4_28:                               ;   in Loop: Header=BB4_9 Depth=1
	v_mov_b32_e32 v51, s9
	v_add_co_u32_e64 v50, s[6:7], s8, v14
	v_addc_co_u32_e64 v51, s[6:7], v9, v51, s[6:7]
	global_load_ushort v50, v[50:51], off
	s_or_b64 exec, exec, s[16:17]
	s_and_saveexec_b64 s[6:7], vcc
	s_cbranch_execz .LBB4_24
.LBB4_29:                               ;   in Loop: Header=BB4_9 Depth=1
	s_waitcnt vmcnt(0)
	v_cvt_f32_f16_e32 v51, v40
	v_cvt_f32_f16_e32 v52, v39
	;; [unrolled: 1-line block ×3, first 2 shown]
	v_sub_f32_e32 v51, v51, v52
	v_sub_f32_e32 v52, 1.0, v53
	v_fma_mix_f32 v39, v51, v42, v39 op_sel_hi:[0,1,1]
	v_fma_mix_f32 v40, -v51, v52, v40 op_sel_hi:[0,0,1]
	v_cmp_lt_f32_e64 vcc, |v53|, 0.5
	v_cndmask_b32_e32 v39, v40, v39, vcc
	v_cvt_f16_f32_e32 v39, v39
	v_mov_b32_e32 v40, s9
	v_add_co_u32_e32 v52, vcc, s8, v8
	v_addc_co_u32_e32 v53, vcc, v29, v40, vcc
	global_store_short v[52:53], v39, off
	s_or_b64 exec, exec, s[6:7]
	s_and_saveexec_b64 s[6:7], s[0:1]
	s_cbranch_execz .LBB4_25
.LBB4_30:                               ;   in Loop: Header=BB4_9 Depth=1
	s_waitcnt vmcnt(1)
	v_cvt_f32_f16_e32 v39, v41
	s_waitcnt vmcnt(0)
	v_cvt_f32_f16_e32 v40, v43
	v_cvt_f32_f16_e32 v42, v45
	v_sub_f32_e32 v39, v40, v39
	v_sub_f32_e32 v40, 1.0, v42
	v_fma_mix_f32 v41, v39, v45, v41 op_sel_hi:[0,1,1]
	v_fma_mix_f32 v39, -v39, v40, v43 op_sel_hi:[0,0,1]
	v_cmp_lt_f32_e64 vcc, |v42|, 0.5
	v_cndmask_b32_e32 v39, v39, v41, vcc
	v_cvt_f16_f32_e32 v39, v39
	v_mov_b32_e32 v41, s9
	v_add_co_u32_e32 v40, vcc, s8, v32
	v_addc_co_u32_e32 v41, vcc, v31, v41, vcc
	global_store_short v[40:41], v39, off
	s_or_b64 exec, exec, s[6:7]
	s_and_saveexec_b64 s[0:1], s[2:3]
	s_cbranch_execz .LBB4_26
.LBB4_31:                               ;   in Loop: Header=BB4_9 Depth=1
	s_waitcnt vmcnt(1)
	v_cvt_f32_f16_e32 v39, v44
	s_waitcnt vmcnt(0)
	v_cvt_f32_f16_e32 v40, v46
	v_cvt_f32_f16_e32 v41, v48
	v_sub_f32_e32 v39, v40, v39
	v_sub_f32_e32 v40, 1.0, v41
	v_fma_mix_f32 v42, v39, v48, v44 op_sel_hi:[0,1,1]
	v_fma_mix_f32 v39, -v39, v40, v46 op_sel_hi:[0,0,1]
	v_cmp_lt_f32_e64 vcc, |v41|, 0.5
	v_cndmask_b32_e32 v39, v39, v42, vcc
	v_cvt_f16_f32_e32 v39, v39
	v_mov_b32_e32 v41, s9
	v_add_co_u32_e32 v40, vcc, s8, v24
	v_addc_co_u32_e32 v41, vcc, v19, v41, vcc
	global_store_short v[40:41], v39, off
	s_or_b64 exec, exec, s[0:1]
	s_and_saveexec_b64 s[0:1], s[4:5]
	s_cbranch_execz .LBB4_8
.LBB4_32:                               ;   in Loop: Header=BB4_9 Depth=1
	s_waitcnt vmcnt(1)
	v_cvt_f32_f16_e32 v39, v47
	s_waitcnt vmcnt(0)
	v_cvt_f32_f16_e32 v40, v49
	v_cvt_f32_f16_e32 v41, v50
	v_sub_f32_e32 v39, v40, v39
	v_sub_f32_e32 v40, 1.0, v41
	v_fma_mix_f32 v42, v39, v50, v47 op_sel_hi:[0,1,1]
	v_fma_mix_f32 v39, -v39, v40, v49 op_sel_hi:[0,0,1]
	v_cmp_lt_f32_e64 vcc, |v41|, 0.5
	v_cndmask_b32_e32 v39, v39, v42, vcc
	v_cvt_f16_f32_e32 v39, v39
	v_mov_b32_e32 v41, s9
	v_add_co_u32_e32 v40, vcc, s8, v16
	v_addc_co_u32_e32 v41, vcc, v11, v41, vcc
	global_store_short v[40:41], v39, off
	s_branch .LBB4_8
.LBB4_33:
	s_endpgm
	.section	.rodata,"a",@progbits
	.p2align	6, 0x0
	.amdhsa_kernel _ZN2at6native12_GLOBAL__N_125multi_tensor_apply_kernelINS1_18TensorListMetadataILi4EEENS1_20TernaryOpListFunctorIN3c104HalfELi4ELi3ELi3EEEJNS0_11LerpFunctorIfEEEEEvT_T0_DpT1_
		.amdhsa_group_segment_fixed_size 0
		.amdhsa_private_segment_fixed_size 0
		.amdhsa_kernarg_size 3312
		.amdhsa_user_sgpr_count 6
		.amdhsa_user_sgpr_private_segment_buffer 1
		.amdhsa_user_sgpr_dispatch_ptr 0
		.amdhsa_user_sgpr_queue_ptr 0
		.amdhsa_user_sgpr_kernarg_segment_ptr 1
		.amdhsa_user_sgpr_dispatch_id 0
		.amdhsa_user_sgpr_flat_scratch_init 0
		.amdhsa_user_sgpr_kernarg_preload_length 0
		.amdhsa_user_sgpr_kernarg_preload_offset 0
		.amdhsa_user_sgpr_private_segment_size 0
		.amdhsa_uses_dynamic_stack 0
		.amdhsa_system_sgpr_private_segment_wavefront_offset 0
		.amdhsa_system_sgpr_workgroup_id_x 1
		.amdhsa_system_sgpr_workgroup_id_y 0
		.amdhsa_system_sgpr_workgroup_id_z 0
		.amdhsa_system_sgpr_workgroup_info 0
		.amdhsa_system_vgpr_workitem_id 0
		.amdhsa_next_free_vgpr 54
		.amdhsa_next_free_sgpr 30
		.amdhsa_accum_offset 56
		.amdhsa_reserve_vcc 1
		.amdhsa_reserve_flat_scratch 0
		.amdhsa_float_round_mode_32 0
		.amdhsa_float_round_mode_16_64 0
		.amdhsa_float_denorm_mode_32 3
		.amdhsa_float_denorm_mode_16_64 3
		.amdhsa_dx10_clamp 1
		.amdhsa_ieee_mode 1
		.amdhsa_fp16_overflow 0
		.amdhsa_tg_split 0
		.amdhsa_exception_fp_ieee_invalid_op 0
		.amdhsa_exception_fp_denorm_src 0
		.amdhsa_exception_fp_ieee_div_zero 0
		.amdhsa_exception_fp_ieee_overflow 0
		.amdhsa_exception_fp_ieee_underflow 0
		.amdhsa_exception_fp_ieee_inexact 0
		.amdhsa_exception_int_div_zero 0
	.end_amdhsa_kernel
	.section	.text._ZN2at6native12_GLOBAL__N_125multi_tensor_apply_kernelINS1_18TensorListMetadataILi4EEENS1_20TernaryOpListFunctorIN3c104HalfELi4ELi3ELi3EEEJNS0_11LerpFunctorIfEEEEEvT_T0_DpT1_,"axG",@progbits,_ZN2at6native12_GLOBAL__N_125multi_tensor_apply_kernelINS1_18TensorListMetadataILi4EEENS1_20TernaryOpListFunctorIN3c104HalfELi4ELi3ELi3EEEJNS0_11LerpFunctorIfEEEEEvT_T0_DpT1_,comdat
.Lfunc_end4:
	.size	_ZN2at6native12_GLOBAL__N_125multi_tensor_apply_kernelINS1_18TensorListMetadataILi4EEENS1_20TernaryOpListFunctorIN3c104HalfELi4ELi3ELi3EEEJNS0_11LerpFunctorIfEEEEEvT_T0_DpT1_, .Lfunc_end4-_ZN2at6native12_GLOBAL__N_125multi_tensor_apply_kernelINS1_18TensorListMetadataILi4EEENS1_20TernaryOpListFunctorIN3c104HalfELi4ELi3ELi3EEEJNS0_11LerpFunctorIfEEEEEvT_T0_DpT1_
                                        ; -- End function
	.section	.AMDGPU.csdata,"",@progbits
; Kernel info:
; codeLenInByte = 2472
; NumSgprs: 34
; NumVgprs: 54
; NumAgprs: 0
; TotalNumVgprs: 54
; ScratchSize: 0
; MemoryBound: 0
; FloatMode: 240
; IeeeMode: 1
; LDSByteSize: 0 bytes/workgroup (compile time only)
; SGPRBlocks: 4
; VGPRBlocks: 6
; NumSGPRsForWavesPerEU: 34
; NumVGPRsForWavesPerEU: 54
; AccumOffset: 56
; Occupancy: 8
; WaveLimiterHint : 0
; COMPUTE_PGM_RSRC2:SCRATCH_EN: 0
; COMPUTE_PGM_RSRC2:USER_SGPR: 6
; COMPUTE_PGM_RSRC2:TRAP_HANDLER: 0
; COMPUTE_PGM_RSRC2:TGID_X_EN: 1
; COMPUTE_PGM_RSRC2:TGID_Y_EN: 0
; COMPUTE_PGM_RSRC2:TGID_Z_EN: 0
; COMPUTE_PGM_RSRC2:TIDIG_COMP_CNT: 0
; COMPUTE_PGM_RSRC3_GFX90A:ACCUM_OFFSET: 13
; COMPUTE_PGM_RSRC3_GFX90A:TG_SPLIT: 0
	.section	.text._ZN2at6native12_GLOBAL__N_125multi_tensor_apply_kernelINS1_18TensorListMetadataILi4EEENS1_20TernaryOpListFunctorIN3c108BFloat16ELi4ELi3ELi3EEEJNS0_11LerpFunctorIfEEEEEvT_T0_DpT1_,"axG",@progbits,_ZN2at6native12_GLOBAL__N_125multi_tensor_apply_kernelINS1_18TensorListMetadataILi4EEENS1_20TernaryOpListFunctorIN3c108BFloat16ELi4ELi3ELi3EEEJNS0_11LerpFunctorIfEEEEEvT_T0_DpT1_,comdat
	.globl	_ZN2at6native12_GLOBAL__N_125multi_tensor_apply_kernelINS1_18TensorListMetadataILi4EEENS1_20TernaryOpListFunctorIN3c108BFloat16ELi4ELi3ELi3EEEJNS0_11LerpFunctorIfEEEEEvT_T0_DpT1_ ; -- Begin function _ZN2at6native12_GLOBAL__N_125multi_tensor_apply_kernelINS1_18TensorListMetadataILi4EEENS1_20TernaryOpListFunctorIN3c108BFloat16ELi4ELi3ELi3EEEJNS0_11LerpFunctorIfEEEEEvT_T0_DpT1_
	.p2align	8
	.type	_ZN2at6native12_GLOBAL__N_125multi_tensor_apply_kernelINS1_18TensorListMetadataILi4EEENS1_20TernaryOpListFunctorIN3c108BFloat16ELi4ELi3ELi3EEEJNS0_11LerpFunctorIfEEEEEvT_T0_DpT1_,@function
_ZN2at6native12_GLOBAL__N_125multi_tensor_apply_kernelINS1_18TensorListMetadataILi4EEENS1_20TernaryOpListFunctorIN3c108BFloat16ELi4ELi3ELi3EEEJNS0_11LerpFunctorIfEEEEEvT_T0_DpT1_: ; @_ZN2at6native12_GLOBAL__N_125multi_tensor_apply_kernelINS1_18TensorListMetadataILi4EEENS1_20TernaryOpListFunctorIN3c108BFloat16ELi4ELi3ELi3EEEJNS0_11LerpFunctorIfEEEEEvT_T0_DpT1_
; %bb.0:
	v_mov_b32_e32 v1, s6
	global_load_ubyte v1, v1, s[4:5] offset:1440
	s_add_u32 s0, s4, s6
	s_mul_hi_u32 s2, s6, 3
	s_mul_i32 s6, s6, 3
	s_addc_u32 s7, s5, 0
	s_add_u32 s6, s0, s6
	s_addc_u32 s7, s7, s2
	s_load_dword s10, s[6:7], 0x6e0
	s_mov_b32 s1, 0
	s_mov_b32 s3, s1
	;; [unrolled: 1-line block ×3, first 2 shown]
	s_waitcnt lgkmcnt(0)
	s_ashr_i32 s11, s10, 31
	s_lshl_b64 s[8:9], s[10:11], 17
	s_waitcnt vmcnt(0)
	v_readfirstlane_b32 s0, v1
	s_lshl_b32 s0, s0, 3
	s_load_dwordx2 s[20:21], s[4:5], s0 offset:0x480
	s_load_dwordx2 s[14:15], s[4:5], s0 offset:0x0
	;; [unrolled: 1-line block ×5, first 2 shown]
	s_waitcnt lgkmcnt(0)
	s_and_b32 s0, s14, 7
	s_add_u32 s2, s18, s8
	s_and_b32 s2, s2, 7
	s_cmp_lg_u64 s[2:3], 0
	s_cselect_b64 s[2:3], -1, 0
	s_add_u32 s12, s16, s8
	s_or_b32 s12, s6, s12
	s_and_b32 s12, s12, 7
	s_cmp_lg_u32 s12, 0
	s_cselect_b64 s[22:23], -1, 0
	s_lshl_b64 s[10:11], s[10:11], 16
	s_or_b64 s[2:3], s[22:23], s[2:3]
	s_sub_u32 s10, s20, s10
	s_subb_u32 s11, s21, s11
	s_and_b32 s12, s20, 3
	s_or_b64 s[12:13], s[0:1], s[12:13]
	s_cmp_lg_u64 s[12:13], 0
	s_cselect_b64 s[12:13], -1, 0
	s_or_b64 s[2:3], s[2:3], s[12:13]
	s_andn2_b64 vcc, exec, s[2:3]
	s_mov_b64 s[2:3], -1
	s_cbranch_vccz .LBB5_5
; %bb.1:
	v_mov_b32_e32 v3, 0
	v_lshlrev_b32_e32 v2, 2, v0
	v_cmp_gt_i64_e32 vcc, s[10:11], v[2:3]
	s_and_saveexec_b64 s[12:13], vcc
	s_cbranch_execz .LBB5_4
; %bb.2:
	s_load_dword s0, s[4:5], 0xbfc
	v_lshlrev_b32_e32 v1, 3, v0
	v_mov_b32_e32 v2, s9
	v_add_co_u32_e32 v4, vcc, s8, v1
	s_waitcnt lgkmcnt(0)
	s_and_b32 s0, s0, 0xffff
	v_addc_co_u32_e32 v1, vcc, 0, v2, vcc
	s_lshl_b32 s24, s0, 3
	v_add_lshl_u32 v2, v0, s0, 2
	s_lshl_b32 s25, s0, 2
	s_mov_b64 s[20:21], 0
	v_mov_b32_e32 v5, s15
	v_mov_b32_e32 v6, s19
	;; [unrolled: 1-line block ×3, first 2 shown]
	s_movk_i32 s26, 0x7fff
	v_mov_b32_e32 v8, 0x7fc0
	v_mov_b32_e32 v9, 0x7fc00000
	;; [unrolled: 1-line block ×3, first 2 shown]
	s_mov_b64 s[22:23], 0xffff
	v_mov_b32_e32 v11, s1
	v_mov_b32_e32 v12, s1
.LBB5_3:                                ; =>This Inner Loop Header: Depth=1
	v_add_co_u32_e32 v14, vcc, s14, v4
	v_addc_co_u32_e32 v15, vcc, v5, v1, vcc
	v_add_co_u32_e32 v16, vcc, s18, v4
	v_addc_co_u32_e32 v17, vcc, v6, v1, vcc
	v_add_co_u32_e32 v18, vcc, s16, v4
	v_addc_co_u32_e32 v19, vcc, v7, v1, vcc
	global_load_dwordx2 v[20:21], v[14:15], off
	global_load_dwordx2 v[22:23], v[16:17], off
	;; [unrolled: 1-line block ×3, first 2 shown]
	v_add_co_u32_e32 v14, vcc, s6, v4
	v_add_co_u32_e64 v4, s[2:3], s24, v4
	v_addc_co_u32_e32 v15, vcc, v10, v1, vcc
	v_addc_co_u32_e64 v1, s[2:3], v1, v11, s[2:3]
	v_cmp_le_i64_e32 vcc, s[10:11], v[2:3]
	v_cmp_lt_u64_e64 s[0:1], s[22:23], v[2:3]
	v_add_co_u32_e64 v2, s[2:3], s25, v2
	v_addc_co_u32_e64 v3, s[2:3], v3, v12, s[2:3]
	s_or_b64 s[0:1], vcc, s[0:1]
	s_and_b64 s[0:1], exec, s[0:1]
	s_or_b64 s[20:21], s[0:1], s[20:21]
	s_waitcnt vmcnt(2)
	v_lshlrev_b32_e32 v13, 16, v20
	s_waitcnt vmcnt(1)
	v_lshlrev_b32_e32 v16, 16, v22
	;; [unrolled: 2-line block ×3, first 2 shown]
	v_and_b32_e32 v18, 0xffff0000, v20
	v_and_b32_e32 v19, 0xffff0000, v22
	;; [unrolled: 1-line block ×3, first 2 shown]
	v_alignbit_b32 v20, v21, v20, 16
	v_alignbit_b32 v22, v23, v22, 16
	;; [unrolled: 1-line block ×3, first 2 shown]
	v_and_b32_e32 v21, 0xffff0000, v21
	v_and_b32_e32 v23, 0xffff0000, v23
	;; [unrolled: 1-line block ×3, first 2 shown]
	v_sub_f32_e32 v27, v16, v13
	v_sub_f32_e32 v28, 1.0, v17
	v_sub_f32_e32 v29, v19, v18
	v_sub_f32_e32 v30, 1.0, v26
	v_and_b32_e32 v20, 0xffff0000, v20
	v_and_b32_e32 v22, 0xffff0000, v22
	v_and_b32_e32 v24, 0xffff0000, v24
	v_sub_f32_e32 v31, v23, v21
	v_sub_f32_e32 v32, 1.0, v25
	v_fmac_f32_e32 v13, v27, v17
	v_fma_f32 v16, -v27, v28, v16
	v_fmac_f32_e32 v18, v29, v26
	v_fma_f32 v19, -v29, v30, v19
	v_cmp_lt_f32_e64 vcc, |v26|, 0.5
	v_sub_f32_e32 v26, v22, v20
	v_sub_f32_e32 v27, 1.0, v24
	v_cmp_lt_f32_e64 s[2:3], |v17|, 0.5
	v_fmac_f32_e32 v21, v31, v25
	v_fma_f32 v23, -v31, v32, v23
	v_cmp_lt_f32_e64 s[0:1], |v25|, 0.5
	v_cndmask_b32_e64 v13, v16, v13, s[2:3]
	v_cndmask_b32_e32 v16, v19, v18, vcc
	v_fmac_f32_e32 v20, v26, v24
	v_fma_f32 v17, -v26, v27, v22
	v_cmp_lt_f32_e64 vcc, |v24|, 0.5
	v_cndmask_b32_e64 v18, v23, v21, s[0:1]
	v_bfe_u32 v19, v13, 16, 1
	v_bfe_u32 v21, v16, 16, 1
	v_cndmask_b32_e32 v17, v17, v20, vcc
	v_bfe_u32 v20, v18, 16, 1
	v_add3_u32 v19, v13, v19, s26
	v_add3_u32 v21, v16, v21, s26
	v_bfe_u32 v22, v17, 16, 1
	v_add3_u32 v20, v18, v20, s26
	v_lshrrev_b32_e32 v19, 16, v19
	v_and_b32_e32 v21, 0xffff0000, v21
	v_cmp_o_f32_e32 vcc, v16, v16
	v_add3_u32 v16, v17, v22, s26
	v_cmp_o_f32_e64 s[2:3], v13, v13
	v_and_b32_e32 v20, 0xffff0000, v20
	v_cmp_o_f32_e64 s[0:1], v18, v18
	v_cndmask_b32_e64 v13, v8, v19, s[2:3]
	v_cndmask_b32_e32 v18, v9, v21, vcc
	v_lshrrev_b32_e32 v16, 16, v16
	v_cmp_o_f32_e32 vcc, v17, v17
	v_cndmask_b32_e64 v19, v9, v20, s[0:1]
	v_or_b32_e32 v13, v13, v18
	v_cndmask_b32_e32 v16, v8, v16, vcc
	v_or3_b32 v17, 0, v16, v19
	v_or3_b32 v16, v13, 0, 0
	global_store_dwordx2 v[14:15], v[16:17], off
	s_andn2_b64 exec, exec, s[20:21]
	s_cbranch_execnz .LBB5_3
.LBB5_4:
	s_or_b64 exec, exec, s[12:13]
	s_mov_b64 s[2:3], 0
.LBB5_5:
	s_andn2_b64 vcc, exec, s[2:3]
	s_cbranch_vccnz .LBB5_33
; %bb.6:
	v_cmp_lt_i64_e64 s[0:1], s[10:11], 1
	s_and_b64 vcc, exec, s[0:1]
	s_cbranch_vccnz .LBB5_33
; %bb.7:
	s_load_dword s0, s[4:5], 0xbfc
	v_mov_b32_e32 v19, 0
	v_lshlrev_b32_e32 v18, 1, v0
	v_mov_b32_e32 v21, s15
	v_mov_b32_e32 v23, s19
	s_waitcnt lgkmcnt(0)
	s_and_b32 s4, s0, 0xffff
	v_mad_u64_u32 v[16:17], s[2:3], s4, 6, v[18:19]
	v_add_co_u32_e64 v10, s[2:3], s14, v16
	v_addc_co_u32_e64 v5, s[2:3], v21, v17, s[2:3]
	v_add_co_u32_e64 v12, s[2:3], s18, v16
	v_addc_co_u32_e64 v7, s[2:3], v23, v17, s[2:3]
	v_mov_b32_e32 v27, s17
	v_add_co_u32_e64 v14, s[2:3], s16, v16
	v_mov_b32_e32 v2, 0x10000
	v_addc_co_u32_e64 v9, s[2:3], v27, v17, s[2:3]
	v_mov_b32_e32 v3, 0
	v_mov_b32_e32 v31, s7
	v_add_co_u32_e64 v16, s[2:3], s6, v16
	v_cmp_lt_u64_e32 vcc, s[10:11], v[2:3]
	s_mul_i32 s23, s4, 3
	v_addc_co_u32_e64 v11, s[2:3], v31, v17, s[2:3]
	s_and_b64 s[0:1], vcc, exec
	v_add_co_u32_e32 v2, vcc, s14, v18
	v_add_co_u32_e64 v40, s[2:3], s23, v0
	s_cselect_b32 s13, s11, 0
	s_cselect_b32 s12, s10, 0x10000
	s_lshl_b32 s21, s4, 2
	v_addc_co_u32_e32 v1, vcc, 0, v21, vcc
	v_addc_co_u32_e64 v41, s[2:3], 0, 0, s[2:3]
	v_add_co_u32_e32 v4, vcc, s18, v18
	v_add_co_u32_e64 v19, s[2:3], s21, v18
	v_addc_co_u32_e32 v3, vcc, 0, v23, vcc
	v_addc_co_u32_e64 v25, s[2:3], 0, 0, s[2:3]
	v_add_co_u32_e32 v6, vcc, s16, v18
	v_add_co_u32_e64 v8, s[0:1], s6, v18
	v_add_co_u32_e64 v18, s[2:3], s14, v19
	v_addc_co_u32_e64 v13, s[2:3], v21, v25, s[2:3]
	v_add_co_u32_e64 v20, s[2:3], s18, v19
	v_addc_co_u32_e64 v15, s[2:3], v23, v25, s[2:3]
	;; [unrolled: 2-line block ×3, first 2 shown]
	v_add_co_u32_e64 v24, s[2:3], s6, v19
	s_lshl_b32 s5, s4, 1
	v_addc_co_u32_e64 v19, s[2:3], v31, v25, s[2:3]
	v_add_co_u32_e64 v42, s[2:3], s5, v0
	v_addc_co_u32_e64 v43, s[2:3], 0, 0, s[2:3]
	v_add_co_u32_e64 v44, s[2:3], s4, v0
	v_addc_co_u32_e64 v45, s[2:3], 0, 0, s[2:3]
	v_lshlrev_b32_e32 v29, 1, v44
	v_addc_co_u32_e32 v25, vcc, 0, v27, vcc
	v_add_co_u32_e64 v26, s[2:3], s14, v29
	v_add_co_u32_e32 v30, vcc, s16, v29
	v_addc_co_u32_e64 v21, s[2:3], 0, v21, s[2:3]
	v_addc_co_u32_e32 v27, vcc, 0, v27, vcc
	v_add_co_u32_e64 v28, s[2:3], s18, v29
	v_add_co_u32_e32 v32, vcc, s6, v29
	s_mov_b32 s20, 0
	s_lshl_b32 s22, s4, 3
	s_mov_b64 s[14:15], 0
	s_movk_i32 s19, 0x7fff
	v_addc_co_u32_e64 v23, s[2:3], 0, v23, s[2:3]
	v_addc_co_u32_e64 v29, s[0:1], 0, v31, s[0:1]
	v_addc_co_u32_e32 v31, vcc, 0, v31, vcc
	v_mov_b32_e32 v46, 0x7fc0
	v_mov_b32_e32 v35, 1.0
	s_branch .LBB5_9
.LBB5_8:                                ;   in Loop: Header=BB5_9 Depth=1
	s_or_b64 exec, exec, s[0:1]
	v_mov_b32_e32 v33, s20
	v_add_co_u32_e64 v2, s[2:3], s22, v2
	v_addc_co_u32_e64 v1, s[2:3], v1, v33, s[2:3]
	v_add_co_u32_e64 v4, s[2:3], s22, v4
	v_addc_co_u32_e64 v3, s[2:3], v3, v33, s[2:3]
	;; [unrolled: 2-line block ×12, first 2 shown]
	v_add_co_u32_e64 v26, s[2:3], s22, v26
	s_add_u32 s14, s14, s21
	v_addc_co_u32_e64 v21, s[2:3], v21, v33, s[2:3]
	s_addc_u32 s15, s15, 0
	v_pk_mov_b32 v[36:37], s[10:11], s[10:11] op_sel:[0,1]
	v_add_co_u32_e64 v28, s[2:3], s22, v28
	v_cmp_ge_i64_e32 vcc, s[14:15], v[36:37]
	v_mov_b32_e32 v36, 0xffff
	v_addc_co_u32_e64 v23, s[2:3], v23, v33, s[2:3]
	v_mov_b32_e32 v37, 0
	v_add_co_u32_e64 v30, s[2:3], s22, v30
	v_cmp_gt_u64_e64 s[0:1], s[14:15], v[36:37]
	v_addc_co_u32_e64 v27, s[2:3], v27, v33, s[2:3]
	v_add_co_u32_e64 v32, s[2:3], s22, v32
	s_or_b64 s[0:1], vcc, s[0:1]
	v_addc_co_u32_e64 v31, s[2:3], v31, v33, s[2:3]
	s_and_b64 vcc, exec, s[0:1]
	s_cbranch_vccnz .LBB5_33
.LBB5_9:                                ; =>This Inner Loop Header: Depth=1
	v_mov_b32_e32 v33, s15
	v_add_co_u32_e32 v36, vcc, s14, v0
	v_addc_co_u32_e32 v37, vcc, 0, v33, vcc
	v_cmp_gt_u64_e32 vcc, s[12:13], v[36:37]
	v_pk_mov_b32 v[36:37], 0, 0
	v_pk_mov_b32 v[38:39], v[36:37], v[36:37] op_sel:[0,1]
	s_waitcnt vmcnt(0)
	v_mov_b32_e32 v34, 0
	s_and_saveexec_b64 s[2:3], vcc
	s_cbranch_execz .LBB5_11
; %bb.10:                               ;   in Loop: Header=BB5_9 Depth=1
	v_mov_b32_e32 v33, s9
	v_add_co_u32_e64 v38, s[0:1], s8, v2
	v_addc_co_u32_e64 v39, s[0:1], v1, v33, s[0:1]
	global_load_ushort v47, v[38:39], off
	v_add_co_u32_e64 v38, s[0:1], s8, v4
	v_addc_co_u32_e64 v39, s[0:1], v3, v33, s[0:1]
	global_load_ushort v34, v[38:39], off
	v_mov_b32_e32 v39, s20
	s_waitcnt vmcnt(1)
	v_and_b32_e32 v38, 0xffff, v47
.LBB5_11:                               ;   in Loop: Header=BB5_9 Depth=1
	s_or_b64 exec, exec, s[2:3]
	s_and_saveexec_b64 s[2:3], vcc
	s_cbranch_execz .LBB5_13
; %bb.12:                               ;   in Loop: Header=BB5_9 Depth=1
	v_mov_b32_e32 v33, s9
	v_add_co_u32_e64 v36, s[0:1], s8, v6
	v_addc_co_u32_e64 v37, s[0:1], v25, v33, s[0:1]
	global_load_ushort v33, v[36:37], off
	v_mov_b32_e32 v37, s20
	s_waitcnt vmcnt(0)
	v_and_b32_e32 v36, 0xffff, v33
.LBB5_13:                               ;   in Loop: Header=BB5_9 Depth=1
	s_or_b64 exec, exec, s[2:3]
	v_mov_b32_e32 v33, s15
	v_add_co_u32_e64 v48, s[0:1], s14, v44
	v_addc_co_u32_e64 v49, s[0:1], v45, v33, s[0:1]
	v_cmp_gt_u64_e64 s[0:1], s[12:13], v[48:49]
	v_mov_b32_e32 v47, 0
	s_and_saveexec_b64 s[4:5], s[0:1]
	s_cbranch_execz .LBB5_15
; %bb.14:                               ;   in Loop: Header=BB5_9 Depth=1
	v_mov_b32_e32 v33, s9
	v_add_co_u32_e64 v48, s[2:3], s8, v26
	v_addc_co_u32_e64 v49, s[2:3], v21, v33, s[2:3]
	global_load_ushort v50, v[48:49], off
	v_add_co_u32_e64 v48, s[2:3], s8, v28
	v_addc_co_u32_e64 v49, s[2:3], v23, v33, s[2:3]
	global_load_ushort v47, v[48:49], off
	s_waitcnt vmcnt(1)
	v_lshl_or_b32 v38, v50, 16, v38
.LBB5_15:                               ;   in Loop: Header=BB5_9 Depth=1
	s_or_b64 exec, exec, s[4:5]
	s_and_saveexec_b64 s[4:5], s[0:1]
	s_cbranch_execz .LBB5_17
; %bb.16:                               ;   in Loop: Header=BB5_9 Depth=1
	v_mov_b32_e32 v33, s9
	v_add_co_u32_e64 v48, s[2:3], s8, v30
	v_addc_co_u32_e64 v49, s[2:3], v27, v33, s[2:3]
	global_load_ushort v33, v[48:49], off
	s_waitcnt vmcnt(0)
	v_lshl_or_b32 v36, v33, 16, v36
.LBB5_17:                               ;   in Loop: Header=BB5_9 Depth=1
	s_or_b64 exec, exec, s[4:5]
	v_mov_b32_e32 v33, s15
	v_add_co_u32_e64 v48, s[2:3], s14, v42
	v_addc_co_u32_e64 v49, s[2:3], v43, v33, s[2:3]
	v_cmp_gt_u64_e64 s[2:3], s[12:13], v[48:49]
	v_mov_b32_e32 v48, 0
	s_and_saveexec_b64 s[6:7], s[2:3]
	s_cbranch_execz .LBB5_19
; %bb.18:                               ;   in Loop: Header=BB5_9 Depth=1
	v_mov_b32_e32 v33, s9
	v_add_co_u32_e64 v48, s[4:5], s8, v18
	v_addc_co_u32_e64 v49, s[4:5], v13, v33, s[4:5]
	global_load_ushort v50, v[48:49], off
	v_add_co_u32_e64 v48, s[4:5], s8, v20
	v_addc_co_u32_e64 v49, s[4:5], v15, v33, s[4:5]
	global_load_ushort v48, v[48:49], off
	s_waitcnt vmcnt(1)
	v_or_b32_e32 v39, v50, v39
.LBB5_19:                               ;   in Loop: Header=BB5_9 Depth=1
	s_or_b64 exec, exec, s[6:7]
	s_and_saveexec_b64 s[6:7], s[2:3]
	s_cbranch_execz .LBB5_21
; %bb.20:                               ;   in Loop: Header=BB5_9 Depth=1
	v_mov_b32_e32 v33, s9
	v_add_co_u32_e64 v50, s[4:5], s8, v22
	v_addc_co_u32_e64 v51, s[4:5], v17, v33, s[4:5]
	global_load_ushort v33, v[50:51], off
	s_waitcnt vmcnt(0)
	v_or_b32_e32 v37, v33, v37
.LBB5_21:                               ;   in Loop: Header=BB5_9 Depth=1
	s_or_b64 exec, exec, s[6:7]
	v_mov_b32_e32 v33, s15
	v_add_co_u32_e64 v50, s[4:5], s14, v40
	v_addc_co_u32_e64 v51, s[4:5], v41, v33, s[4:5]
	v_cmp_gt_u64_e64 s[4:5], s[12:13], v[50:51]
	v_mov_b32_e32 v49, 0
	s_and_saveexec_b64 s[16:17], s[4:5]
	s_cbranch_execnz .LBB5_27
; %bb.22:                               ;   in Loop: Header=BB5_9 Depth=1
	s_or_b64 exec, exec, s[16:17]
	s_and_saveexec_b64 s[16:17], s[4:5]
	s_cbranch_execnz .LBB5_28
.LBB5_23:                               ;   in Loop: Header=BB5_9 Depth=1
	s_or_b64 exec, exec, s[16:17]
	v_mov_b32_e32 v33, v36
	s_and_saveexec_b64 s[6:7], vcc
	s_cbranch_execnz .LBB5_29
.LBB5_24:                               ;   in Loop: Header=BB5_9 Depth=1
	s_or_b64 exec, exec, s[6:7]
	s_and_saveexec_b64 s[6:7], s[0:1]
	s_cbranch_execnz .LBB5_30
.LBB5_25:                               ;   in Loop: Header=BB5_9 Depth=1
	s_or_b64 exec, exec, s[6:7]
	s_and_saveexec_b64 s[0:1], s[2:3]
	s_cbranch_execnz .LBB5_31
.LBB5_26:                               ;   in Loop: Header=BB5_9 Depth=1
	s_or_b64 exec, exec, s[0:1]
	s_and_saveexec_b64 s[0:1], s[4:5]
	s_cbranch_execz .LBB5_8
	s_branch .LBB5_32
.LBB5_27:                               ;   in Loop: Header=BB5_9 Depth=1
	v_mov_b32_e32 v33, s9
	v_add_co_u32_e64 v50, s[6:7], s8, v10
	v_addc_co_u32_e64 v51, s[6:7], v5, v33, s[6:7]
	global_load_ushort v52, v[50:51], off
	v_add_co_u32_e64 v50, s[6:7], s8, v12
	v_addc_co_u32_e64 v51, s[6:7], v7, v33, s[6:7]
	global_load_ushort v49, v[50:51], off
	s_waitcnt vmcnt(1)
	v_lshlrev_b32_e32 v33, 16, v52
	v_or_b32_e32 v39, v33, v39
	s_or_b64 exec, exec, s[16:17]
	s_and_saveexec_b64 s[16:17], s[4:5]
	s_cbranch_execz .LBB5_23
.LBB5_28:                               ;   in Loop: Header=BB5_9 Depth=1
	v_mov_b32_e32 v33, s9
	v_add_co_u32_e64 v50, s[6:7], s8, v14
	v_addc_co_u32_e64 v51, s[6:7], v9, v33, s[6:7]
	global_load_ushort v33, v[50:51], off
	s_waitcnt vmcnt(0)
	v_lshlrev_b32_e32 v33, 16, v33
	v_or_b32_e32 v37, v33, v37
	s_or_b64 exec, exec, s[16:17]
	v_mov_b32_e32 v33, v36
	s_and_saveexec_b64 s[6:7], vcc
	s_cbranch_execz .LBB5_24
.LBB5_29:                               ;   in Loop: Header=BB5_9 Depth=1
	v_lshlrev_b32_e32 v51, 16, v33
	v_lshlrev_b32_e32 v50, 16, v38
	s_waitcnt vmcnt(0)
	v_lshlrev_b32_e32 v34, 16, v34
	v_pk_add_f32 v[52:53], v[34:35], v[50:51] neg_lo:[0,1] neg_hi:[0,1]
	v_fmac_f32_e32 v50, v52, v51
	v_fma_f32 v34, -v52, v53, v34
	v_cmp_lt_f32_e64 vcc, |v51|, 0.5
	v_cndmask_b32_e32 v34, v34, v50, vcc
	v_bfe_u32 v36, v34, 16, 1
	v_mov_b32_e32 v51, s9
	v_add_co_u32_e32 v50, vcc, s8, v8
	v_add3_u32 v36, v34, v36, s19
	v_addc_co_u32_e32 v51, vcc, v29, v51, vcc
	v_lshrrev_b32_e32 v36, 16, v36
	v_cmp_o_f32_e32 vcc, v34, v34
	v_cndmask_b32_e32 v34, v46, v36, vcc
	global_store_short v[50:51], v34, off
	s_or_b64 exec, exec, s[6:7]
	s_and_saveexec_b64 s[6:7], s[0:1]
	s_cbranch_execz .LBB5_25
.LBB5_30:                               ;   in Loop: Header=BB5_9 Depth=1
	s_waitcnt vmcnt(0)
	v_lshlrev_b32_e32 v34, 16, v47
	v_and_b32_e32 v51, 0xffff0000, v33
	v_and_b32_e32 v50, 0xffff0000, v38
	v_pk_add_f32 v[52:53], v[34:35], v[50:51] neg_lo:[0,1] neg_hi:[0,1]
	v_fmac_f32_e32 v50, v52, v51
	v_fma_f32 v33, -v52, v53, v34
	v_cmp_lt_f32_e64 vcc, |v51|, 0.5
	v_cndmask_b32_e32 v33, v33, v50, vcc
	v_bfe_u32 v34, v33, 16, 1
	v_add3_u32 v34, v33, v34, s19
	v_lshrrev_b32_e32 v34, 16, v34
	v_cmp_o_f32_e32 vcc, v33, v33
	v_cndmask_b32_e32 v33, v46, v34, vcc
	v_mov_b32_e32 v34, s9
	v_add_co_u32_e32 v50, vcc, s8, v32
	v_addc_co_u32_e32 v51, vcc, v31, v34, vcc
	global_store_short v[50:51], v33, off
	s_or_b64 exec, exec, s[6:7]
	s_and_saveexec_b64 s[0:1], s[2:3]
	s_cbranch_execz .LBB5_26
.LBB5_31:                               ;   in Loop: Header=BB5_9 Depth=1
	v_alignbit_b32 v33, v39, s0, 16
	v_alignbit_b32 v36, v37, s0, 16
	s_waitcnt vmcnt(0)
	v_lshlrev_b32_e32 v34, 16, v48
	v_and_b32_e32 v51, 0xffff0000, v36
	v_and_b32_e32 v50, 0xffff0000, v33
	v_pk_add_f32 v[52:53], v[34:35], v[50:51] neg_lo:[0,1] neg_hi:[0,1]
	v_fmac_f32_e32 v50, v52, v51
	v_fma_f32 v33, -v52, v53, v34
	v_cmp_lt_f32_e64 vcc, |v51|, 0.5
	v_cndmask_b32_e32 v33, v33, v50, vcc
	v_bfe_u32 v34, v33, 16, 1
	v_add3_u32 v34, v33, v34, s19
	v_lshrrev_b32_e32 v34, 16, v34
	v_cmp_o_f32_e32 vcc, v33, v33
	v_cndmask_b32_e32 v33, v46, v34, vcc
	v_mov_b32_e32 v34, s9
	v_add_co_u32_e32 v50, vcc, s8, v24
	v_addc_co_u32_e32 v51, vcc, v19, v34, vcc
	global_store_short v[50:51], v33, off
	s_or_b64 exec, exec, s[0:1]
	s_and_saveexec_b64 s[0:1], s[4:5]
	s_cbranch_execz .LBB5_8
.LBB5_32:                               ;   in Loop: Header=BB5_9 Depth=1
	s_waitcnt vmcnt(0)
	v_lshlrev_b32_e32 v34, 16, v49
	v_and_b32_e32 v37, 0xffff0000, v37
	v_and_b32_e32 v36, 0xffff0000, v39
	v_pk_add_f32 v[38:39], v[34:35], v[36:37] neg_lo:[0,1] neg_hi:[0,1]
	v_fmac_f32_e32 v36, v38, v37
	v_fma_f32 v33, -v38, v39, v34
	v_cmp_lt_f32_e64 vcc, |v37|, 0.5
	v_cndmask_b32_e32 v33, v33, v36, vcc
	v_bfe_u32 v34, v33, 16, 1
	v_add3_u32 v34, v33, v34, s19
	v_lshrrev_b32_e32 v34, 16, v34
	v_cmp_o_f32_e32 vcc, v33, v33
	v_cndmask_b32_e32 v33, v46, v34, vcc
	v_mov_b32_e32 v34, s9
	v_add_co_u32_e32 v36, vcc, s8, v16
	v_addc_co_u32_e32 v37, vcc, v11, v34, vcc
	global_store_short v[36:37], v33, off
	s_branch .LBB5_8
.LBB5_33:
	s_endpgm
	.section	.rodata,"a",@progbits
	.p2align	6, 0x0
	.amdhsa_kernel _ZN2at6native12_GLOBAL__N_125multi_tensor_apply_kernelINS1_18TensorListMetadataILi4EEENS1_20TernaryOpListFunctorIN3c108BFloat16ELi4ELi3ELi3EEEJNS0_11LerpFunctorIfEEEEEvT_T0_DpT1_
		.amdhsa_group_segment_fixed_size 0
		.amdhsa_private_segment_fixed_size 0
		.amdhsa_kernarg_size 3312
		.amdhsa_user_sgpr_count 6
		.amdhsa_user_sgpr_private_segment_buffer 1
		.amdhsa_user_sgpr_dispatch_ptr 0
		.amdhsa_user_sgpr_queue_ptr 0
		.amdhsa_user_sgpr_kernarg_segment_ptr 1
		.amdhsa_user_sgpr_dispatch_id 0
		.amdhsa_user_sgpr_flat_scratch_init 0
		.amdhsa_user_sgpr_kernarg_preload_length 0
		.amdhsa_user_sgpr_kernarg_preload_offset 0
		.amdhsa_user_sgpr_private_segment_size 0
		.amdhsa_uses_dynamic_stack 0
		.amdhsa_system_sgpr_private_segment_wavefront_offset 0
		.amdhsa_system_sgpr_workgroup_id_x 1
		.amdhsa_system_sgpr_workgroup_id_y 0
		.amdhsa_system_sgpr_workgroup_id_z 0
		.amdhsa_system_sgpr_workgroup_info 0
		.amdhsa_system_vgpr_workitem_id 0
		.amdhsa_next_free_vgpr 54
		.amdhsa_next_free_sgpr 27
		.amdhsa_accum_offset 56
		.amdhsa_reserve_vcc 1
		.amdhsa_reserve_flat_scratch 0
		.amdhsa_float_round_mode_32 0
		.amdhsa_float_round_mode_16_64 0
		.amdhsa_float_denorm_mode_32 3
		.amdhsa_float_denorm_mode_16_64 3
		.amdhsa_dx10_clamp 1
		.amdhsa_ieee_mode 1
		.amdhsa_fp16_overflow 0
		.amdhsa_tg_split 0
		.amdhsa_exception_fp_ieee_invalid_op 0
		.amdhsa_exception_fp_denorm_src 0
		.amdhsa_exception_fp_ieee_div_zero 0
		.amdhsa_exception_fp_ieee_overflow 0
		.amdhsa_exception_fp_ieee_underflow 0
		.amdhsa_exception_fp_ieee_inexact 0
		.amdhsa_exception_int_div_zero 0
	.end_amdhsa_kernel
	.section	.text._ZN2at6native12_GLOBAL__N_125multi_tensor_apply_kernelINS1_18TensorListMetadataILi4EEENS1_20TernaryOpListFunctorIN3c108BFloat16ELi4ELi3ELi3EEEJNS0_11LerpFunctorIfEEEEEvT_T0_DpT1_,"axG",@progbits,_ZN2at6native12_GLOBAL__N_125multi_tensor_apply_kernelINS1_18TensorListMetadataILi4EEENS1_20TernaryOpListFunctorIN3c108BFloat16ELi4ELi3ELi3EEEJNS0_11LerpFunctorIfEEEEEvT_T0_DpT1_,comdat
.Lfunc_end5:
	.size	_ZN2at6native12_GLOBAL__N_125multi_tensor_apply_kernelINS1_18TensorListMetadataILi4EEENS1_20TernaryOpListFunctorIN3c108BFloat16ELi4ELi3ELi3EEEJNS0_11LerpFunctorIfEEEEEvT_T0_DpT1_, .Lfunc_end5-_ZN2at6native12_GLOBAL__N_125multi_tensor_apply_kernelINS1_18TensorListMetadataILi4EEENS1_20TernaryOpListFunctorIN3c108BFloat16ELi4ELi3ELi3EEEJNS0_11LerpFunctorIfEEEEEvT_T0_DpT1_
                                        ; -- End function
	.section	.AMDGPU.csdata,"",@progbits
; Kernel info:
; codeLenInByte = 2836
; NumSgprs: 31
; NumVgprs: 54
; NumAgprs: 0
; TotalNumVgprs: 54
; ScratchSize: 0
; MemoryBound: 0
; FloatMode: 240
; IeeeMode: 1
; LDSByteSize: 0 bytes/workgroup (compile time only)
; SGPRBlocks: 3
; VGPRBlocks: 6
; NumSGPRsForWavesPerEU: 31
; NumVGPRsForWavesPerEU: 54
; AccumOffset: 56
; Occupancy: 8
; WaveLimiterHint : 0
; COMPUTE_PGM_RSRC2:SCRATCH_EN: 0
; COMPUTE_PGM_RSRC2:USER_SGPR: 6
; COMPUTE_PGM_RSRC2:TRAP_HANDLER: 0
; COMPUTE_PGM_RSRC2:TGID_X_EN: 1
; COMPUTE_PGM_RSRC2:TGID_Y_EN: 0
; COMPUTE_PGM_RSRC2:TGID_Z_EN: 0
; COMPUTE_PGM_RSRC2:TIDIG_COMP_CNT: 0
; COMPUTE_PGM_RSRC3_GFX90A:ACCUM_OFFSET: 13
; COMPUTE_PGM_RSRC3_GFX90A:TG_SPLIT: 0
	.section	.text._ZN2at6native12_GLOBAL__N_125multi_tensor_apply_kernelINS1_18TensorListMetadataILi3EEENS1_20TernaryOpListFunctorIdLi3ELi3ELi0EEEJNS0_11LerpFunctorIdEEEEEvT_T0_DpT1_,"axG",@progbits,_ZN2at6native12_GLOBAL__N_125multi_tensor_apply_kernelINS1_18TensorListMetadataILi3EEENS1_20TernaryOpListFunctorIdLi3ELi3ELi0EEEJNS0_11LerpFunctorIdEEEEEvT_T0_DpT1_,comdat
	.globl	_ZN2at6native12_GLOBAL__N_125multi_tensor_apply_kernelINS1_18TensorListMetadataILi3EEENS1_20TernaryOpListFunctorIdLi3ELi3ELi0EEEJNS0_11LerpFunctorIdEEEEEvT_T0_DpT1_ ; -- Begin function _ZN2at6native12_GLOBAL__N_125multi_tensor_apply_kernelINS1_18TensorListMetadataILi3EEENS1_20TernaryOpListFunctorIdLi3ELi3ELi0EEEJNS0_11LerpFunctorIdEEEEEvT_T0_DpT1_
	.p2align	8
	.type	_ZN2at6native12_GLOBAL__N_125multi_tensor_apply_kernelINS1_18TensorListMetadataILi3EEENS1_20TernaryOpListFunctorIdLi3ELi3ELi0EEEJNS0_11LerpFunctorIdEEEEEvT_T0_DpT1_,@function
_ZN2at6native12_GLOBAL__N_125multi_tensor_apply_kernelINS1_18TensorListMetadataILi3EEENS1_20TernaryOpListFunctorIdLi3ELi3ELi0EEEJNS0_11LerpFunctorIdEEEEEvT_T0_DpT1_: ; @_ZN2at6native12_GLOBAL__N_125multi_tensor_apply_kernelINS1_18TensorListMetadataILi3EEENS1_20TernaryOpListFunctorIdLi3ELi3ELi0EEEJNS0_11LerpFunctorIdEEEEEvT_T0_DpT1_
; %bb.0:
	v_mov_b32_e32 v1, s6
	global_load_ubyte v1, v1, s[4:5] offset:1536
	s_add_u32 s0, s4, s6
	s_mul_hi_u32 s1, s6, 3
	s_mul_i32 s6, s6, 3
	s_addc_u32 s2, s5, 0
	s_add_u32 s0, s0, s6
	s_addc_u32 s1, s2, s1
	s_load_dword s2, s[0:1], 0x740
	s_mov_b32 s1, 0
	s_mov_b32 s7, s1
	s_waitcnt lgkmcnt(0)
	s_ashr_i32 s3, s2, 31
	s_lshl_b64 s[8:9], s[2:3], 19
	s_waitcnt vmcnt(0)
	v_readfirstlane_b32 s0, v1
	s_lshl_b32 s0, s0, 3
	s_load_dwordx2 s[18:19], s[4:5], s0 offset:0x0
	s_load_dwordx2 s[16:17], s[4:5], s0 offset:0x180
	;; [unrolled: 1-line block ×4, first 2 shown]
	s_waitcnt lgkmcnt(0)
	s_add_u32 s24, s18, s8
	s_addc_u32 s25, s19, s9
	s_and_b32 s0, s24, 31
	s_add_u32 s26, s16, s8
	s_addc_u32 s27, s17, s9
	s_add_u32 s28, s14, s8
	s_addc_u32 s29, s15, s9
	s_or_b32 s6, s28, s26
	s_and_b32 s6, s6, 31
	s_cmp_lg_u32 s6, 0
	s_cselect_b64 s[20:21], -1, 0
	s_lshl_b64 s[2:3], s[2:3], 16
	s_sub_u32 s10, s12, s2
	s_subb_u32 s11, s13, s3
	s_and_b32 s6, s12, 3
	s_or_b64 s[2:3], s[0:1], s[6:7]
	s_cmp_lg_u64 s[2:3], 0
	s_cselect_b64 s[2:3], -1, 0
	s_or_b64 s[2:3], s[20:21], s[2:3]
	s_andn2_b64 vcc, exec, s[2:3]
	s_mov_b64 s[2:3], -1
	s_cbranch_vccz .LBB6_5
; %bb.1:
	v_mov_b32_e32 v3, 0
	v_lshlrev_b32_e32 v2, 2, v0
	v_cmp_gt_i64_e32 vcc, s[10:11], v[2:3]
	s_and_saveexec_b64 s[12:13], vcc
	s_cbranch_execz .LBB6_4
; %bb.2:
	s_load_dword s0, s[4:5], 0xc5c
	v_lshlrev_b32_e32 v4, 5, v0
	s_mov_b64 s[20:21], 0
	s_mov_b64 s[22:23], 0xffff
	v_mov_b32_e32 v1, s1
	s_waitcnt lgkmcnt(0)
	s_and_b32 s0, s0, 0xffff
	v_add_lshl_u32 v2, v0, s0, 2
	s_lshl_b32 s30, s0, 2
	s_lshl_b32 s31, s0, 5
.LBB6_3:                                ; =>This Inner Loop Header: Depth=1
	v_mov_b32_e32 v5, s25
	v_add_co_u32_e64 v34, s[2:3], s24, v4
	v_mov_b32_e32 v6, s27
	v_add_co_u32_e32 v30, vcc, s26, v4
	v_mov_b32_e32 v7, s29
	v_add_co_u32_e64 v32, s[0:1], s28, v4
	v_addc_co_u32_e64 v35, s[2:3], 0, v5, s[2:3]
	v_addc_co_u32_e32 v31, vcc, 0, v6, vcc
	v_addc_co_u32_e64 v33, vcc, 0, v7, s[0:1]
	global_load_dwordx4 v[6:9], v[34:35], off
	global_load_dwordx4 v[10:13], v[30:31], off
	;; [unrolled: 1-line block ×3, first 2 shown]
	global_load_dwordx4 v[18:21], v[34:35], off offset:16
	global_load_dwordx4 v[22:25], v[30:31], off offset:16
	;; [unrolled: 1-line block ×3, first 2 shown]
	v_cmp_le_i64_e32 vcc, s[10:11], v[2:3]
	v_cmp_lt_u64_e64 s[0:1], s[22:23], v[2:3]
	s_or_b64 s[0:1], vcc, s[0:1]
	s_add_u32 s24, s24, s31
	s_addc_u32 s25, s25, 0
	s_add_u32 s28, s28, s31
	s_addc_u32 s29, s29, 0
	s_add_u32 s26, s26, s31
	v_add_co_u32_e64 v2, s[2:3], s30, v2
	s_addc_u32 s27, s27, 0
	v_addc_co_u32_e64 v3, s[2:3], v3, v1, s[2:3]
	s_and_b64 s[0:1], exec, s[0:1]
	s_or_b64 s[20:21], s[0:1], s[20:21]
	s_waitcnt vmcnt(4)
	v_add_f64 v[30:31], v[10:11], -v[6:7]
	s_waitcnt vmcnt(3)
	v_add_f64 v[32:33], -v[14:15], 1.0
	v_add_f64 v[36:37], v[12:13], -v[8:9]
	v_add_f64 v[38:39], -v[16:17], 1.0
	s_waitcnt vmcnt(1)
	v_add_f64 v[40:41], v[22:23], -v[18:19]
	s_waitcnt vmcnt(0)
	v_add_f64 v[42:43], -v[26:27], 1.0
	v_add_f64 v[44:45], v[24:25], -v[20:21]
	v_add_f64 v[46:47], -v[28:29], 1.0
	v_fmac_f64_e32 v[6:7], v[30:31], v[14:15]
	v_fma_f64 v[10:11], -v[30:31], v[32:33], v[10:11]
	v_fmac_f64_e32 v[8:9], v[36:37], v[16:17]
	v_fma_f64 v[12:13], -v[36:37], v[38:39], v[12:13]
	v_cmp_lt_f64_e64 vcc, |v[16:17]|, 0.5
	v_cmp_lt_f64_e64 s[6:7], |v[14:15]|, 0.5
	v_fmac_f64_e32 v[18:19], v[40:41], v[26:27]
	v_fma_f64 v[16:17], -v[40:41], v[42:43], v[22:23]
	v_cmp_lt_f64_e64 s[0:1], |v[26:27]|, 0.5
	v_fmac_f64_e32 v[20:21], v[44:45], v[28:29]
	v_fma_f64 v[22:23], -v[44:45], v[46:47], v[24:25]
	v_cmp_lt_f64_e64 s[2:3], |v[28:29]|, 0.5
	v_cndmask_b32_e64 v7, v11, v7, s[6:7]
	v_cndmask_b32_e64 v6, v10, v6, s[6:7]
	v_cndmask_b32_e32 v9, v13, v9, vcc
	v_cndmask_b32_e32 v8, v12, v8, vcc
	v_cndmask_b32_e64 v11, v17, v19, s[0:1]
	v_cndmask_b32_e64 v10, v16, v18, s[0:1]
	;; [unrolled: 1-line block ×4, first 2 shown]
	global_store_dwordx4 v[34:35], v[6:9], off
	global_store_dwordx4 v[34:35], v[10:13], off offset:16
	s_andn2_b64 exec, exec, s[20:21]
	s_cbranch_execnz .LBB6_3
.LBB6_4:
	s_or_b64 exec, exec, s[12:13]
	s_mov_b64 s[2:3], 0
.LBB6_5:
	s_andn2_b64 vcc, exec, s[2:3]
	s_cbranch_vccnz .LBB6_33
; %bb.6:
	v_cmp_lt_i64_e64 s[0:1], s[10:11], 1
	s_and_b64 vcc, exec, s[0:1]
	s_cbranch_vccnz .LBB6_33
; %bb.7:
	s_load_dword s0, s[4:5], 0xc5c
	v_mov_b32_e32 v2, 0x10000
	v_mov_b32_e32 v3, 0
	v_cmp_lt_u64_e32 vcc, s[10:11], v[2:3]
	v_lshlrev_b32_e32 v14, 3, v0
	s_waitcnt lgkmcnt(0)
	s_and_b32 s2, s0, 0xffff
	s_and_b64 s[0:1], vcc, exec
	v_mov_b32_e32 v19, s19
	v_add_co_u32_e32 v2, vcc, s18, v14
	v_addc_co_u32_e32 v1, vcc, 0, v19, vcc
	v_mov_b32_e32 v21, s17
	v_add_co_u32_e32 v4, vcc, s16, v14
	v_addc_co_u32_e32 v3, vcc, 0, v21, vcc
	v_mov_b32_e32 v15, 0
	v_mov_b32_e32 v23, s15
	v_add_co_u32_e32 v6, vcc, s14, v14
	v_addc_co_u32_e32 v5, vcc, 0, v23, vcc
	v_mad_u64_u32 v[12:13], s[0:1], s2, 24, v[14:15]
	v_add_co_u32_e32 v8, vcc, s18, v12
	v_addc_co_u32_e32 v7, vcc, v19, v13, vcc
	v_add_co_u32_e32 v10, vcc, s16, v12
	v_addc_co_u32_e32 v9, vcc, v21, v13, vcc
	v_add_co_u32_e32 v12, vcc, s14, v12
	s_mul_i32 s4, s2, 3
	v_addc_co_u32_e32 v11, vcc, v23, v13, vcc
	v_add_co_u32_e32 v25, vcc, s4, v0
	v_addc_co_u32_e64 v50, s[0:1], 0, 0, vcc
	s_cselect_b32 s13, s11, 0
	s_cselect_b32 s12, s10, 0x10000
	s_lshl_b32 s0, s2, 4
	v_add_co_u32_e32 v17, vcc, s0, v14
	v_addc_co_u32_e64 v20, s[0:1], 0, 0, vcc
	v_add_co_u32_e32 v14, vcc, s18, v17
	v_addc_co_u32_e32 v13, vcc, v19, v20, vcc
	v_add_co_u32_e32 v16, vcc, s16, v17
	v_addc_co_u32_e32 v15, vcc, v21, v20, vcc
	v_add_co_u32_e32 v18, vcc, s14, v17
	s_lshl_b32 s3, s2, 1
	v_addc_co_u32_e32 v17, vcc, v23, v20, vcc
	v_add_co_u32_e32 v51, vcc, s3, v0
	v_addc_co_u32_e64 v52, s[0:1], 0, 0, vcc
	v_add_co_u32_e32 v53, vcc, s2, v0
	v_lshlrev_b32_e32 v24, 3, v53
	v_addc_co_u32_e64 v54, s[0:1], 0, 0, vcc
	v_add_co_u32_e32 v20, vcc, s18, v24
	v_addc_co_u32_e32 v19, vcc, 0, v19, vcc
	v_add_co_u32_e32 v22, vcc, s16, v24
	v_addc_co_u32_e32 v21, vcc, 0, v21, vcc
	v_add_co_u32_e32 v24, vcc, s14, v24
	s_mov_b32 s20, 0
	s_lshl_b32 s21, s2, 2
	s_lshl_b32 s19, s2, 5
	v_addc_co_u32_e32 v23, vcc, 0, v23, vcc
	s_mov_b64 s[14:15], 0
	s_branch .LBB6_9
.LBB6_8:                                ;   in Loop: Header=BB6_9 Depth=1
	s_or_b64 exec, exec, s[0:1]
	s_add_u32 s14, s14, s21
	s_addc_u32 s15, s15, 0
	s_waitcnt vmcnt(0)
	v_pk_mov_b32 v[26:27], s[10:11], s[10:11] op_sel:[0,1]
	v_cmp_ge_i64_e32 vcc, s[14:15], v[26:27]
	v_mov_b32_e32 v26, 0xffff
	v_mov_b32_e32 v27, 0
	v_cmp_gt_u64_e64 s[0:1], s[14:15], v[26:27]
	s_or_b64 s[0:1], vcc, s[0:1]
	v_mov_b32_e32 v26, s20
	v_add_co_u32_e32 v2, vcc, s19, v2
	v_addc_co_u32_e32 v1, vcc, v1, v26, vcc
	v_add_co_u32_e32 v4, vcc, s19, v4
	v_addc_co_u32_e32 v3, vcc, v3, v26, vcc
	;; [unrolled: 2-line block ×12, first 2 shown]
	s_and_b64 vcc, exec, s[0:1]
	s_cbranch_vccnz .LBB6_33
.LBB6_9:                                ; =>This Inner Loop Header: Depth=1
	v_mov_b32_e32 v27, s15
	v_add_co_u32_e32 v26, vcc, s14, v0
	v_addc_co_u32_e32 v27, vcc, 0, v27, vcc
	v_cmp_gt_u64_e32 vcc, s[12:13], v[26:27]
	v_pk_mov_b32 v[26:27], 0, 0
	v_pk_mov_b32 v[28:29], v[26:27], v[26:27] op_sel:[0,1]
	v_pk_mov_b32 v[30:31], v[26:27], v[26:27] op_sel:[0,1]
	s_and_saveexec_b64 s[2:3], vcc
	s_cbranch_execz .LBB6_11
; %bb.10:                               ;   in Loop: Header=BB6_9 Depth=1
	v_mov_b32_e32 v28, s9
	v_add_co_u32_e64 v32, s[0:1], s8, v4
	v_addc_co_u32_e64 v33, s[0:1], v3, v28, s[0:1]
	v_add_co_u32_e64 v34, s[0:1], s8, v2
	v_addc_co_u32_e64 v35, s[0:1], v1, v28, s[0:1]
	global_load_dwordx2 v[28:29], v[34:35], off
	global_load_dwordx2 v[30:31], v[32:33], off
.LBB6_11:                               ;   in Loop: Header=BB6_9 Depth=1
	s_or_b64 exec, exec, s[2:3]
	s_and_saveexec_b64 s[2:3], vcc
	s_cbranch_execz .LBB6_13
; %bb.12:                               ;   in Loop: Header=BB6_9 Depth=1
	v_mov_b32_e32 v27, s9
	v_add_co_u32_e64 v26, s[0:1], s8, v6
	v_addc_co_u32_e64 v27, s[0:1], v5, v27, s[0:1]
	global_load_dwordx2 v[26:27], v[26:27], off
.LBB6_13:                               ;   in Loop: Header=BB6_9 Depth=1
	s_or_b64 exec, exec, s[2:3]
	v_mov_b32_e32 v33, s15
	v_add_co_u32_e64 v32, s[0:1], s14, v53
	v_addc_co_u32_e64 v33, s[0:1], v54, v33, s[0:1]
	v_cmp_gt_u64_e64 s[0:1], s[12:13], v[32:33]
	v_pk_mov_b32 v[32:33], 0, 0
	v_pk_mov_b32 v[34:35], v[32:33], v[32:33] op_sel:[0,1]
	v_pk_mov_b32 v[36:37], v[32:33], v[32:33] op_sel:[0,1]
	s_and_saveexec_b64 s[4:5], s[0:1]
	s_cbranch_execz .LBB6_15
; %bb.14:                               ;   in Loop: Header=BB6_9 Depth=1
	v_mov_b32_e32 v34, s9
	v_add_co_u32_e64 v38, s[2:3], s8, v22
	v_addc_co_u32_e64 v39, s[2:3], v21, v34, s[2:3]
	v_add_co_u32_e64 v40, s[2:3], s8, v20
	v_addc_co_u32_e64 v41, s[2:3], v19, v34, s[2:3]
	global_load_dwordx2 v[34:35], v[40:41], off
	global_load_dwordx2 v[36:37], v[38:39], off
.LBB6_15:                               ;   in Loop: Header=BB6_9 Depth=1
	s_or_b64 exec, exec, s[4:5]
	s_and_saveexec_b64 s[4:5], s[0:1]
	s_cbranch_execz .LBB6_17
; %bb.16:                               ;   in Loop: Header=BB6_9 Depth=1
	v_mov_b32_e32 v33, s9
	v_add_co_u32_e64 v32, s[2:3], s8, v24
	v_addc_co_u32_e64 v33, s[2:3], v23, v33, s[2:3]
	global_load_dwordx2 v[32:33], v[32:33], off
.LBB6_17:                               ;   in Loop: Header=BB6_9 Depth=1
	s_or_b64 exec, exec, s[4:5]
	v_mov_b32_e32 v39, s15
	v_add_co_u32_e64 v38, s[2:3], s14, v51
	v_addc_co_u32_e64 v39, s[2:3], v52, v39, s[2:3]
	v_cmp_gt_u64_e64 s[2:3], s[12:13], v[38:39]
	v_pk_mov_b32 v[38:39], 0, 0
	v_pk_mov_b32 v[40:41], v[38:39], v[38:39] op_sel:[0,1]
	v_pk_mov_b32 v[42:43], v[38:39], v[38:39] op_sel:[0,1]
	s_and_saveexec_b64 s[6:7], s[2:3]
	s_cbranch_execz .LBB6_19
; %bb.18:                               ;   in Loop: Header=BB6_9 Depth=1
	v_mov_b32_e32 v40, s9
	v_add_co_u32_e64 v44, s[4:5], s8, v16
	v_addc_co_u32_e64 v45, s[4:5], v15, v40, s[4:5]
	v_add_co_u32_e64 v46, s[4:5], s8, v14
	v_addc_co_u32_e64 v47, s[4:5], v13, v40, s[4:5]
	global_load_dwordx2 v[40:41], v[46:47], off
	global_load_dwordx2 v[42:43], v[44:45], off
.LBB6_19:                               ;   in Loop: Header=BB6_9 Depth=1
	s_or_b64 exec, exec, s[6:7]
	s_and_saveexec_b64 s[6:7], s[2:3]
	s_cbranch_execz .LBB6_21
; %bb.20:                               ;   in Loop: Header=BB6_9 Depth=1
	v_mov_b32_e32 v39, s9
	v_add_co_u32_e64 v38, s[4:5], s8, v18
	v_addc_co_u32_e64 v39, s[4:5], v17, v39, s[4:5]
	global_load_dwordx2 v[38:39], v[38:39], off
.LBB6_21:                               ;   in Loop: Header=BB6_9 Depth=1
	s_or_b64 exec, exec, s[6:7]
	v_mov_b32_e32 v45, s15
	v_add_co_u32_e64 v44, s[4:5], s14, v25
	v_addc_co_u32_e64 v45, s[4:5], v50, v45, s[4:5]
	v_cmp_gt_u64_e64 s[4:5], s[12:13], v[44:45]
	v_pk_mov_b32 v[44:45], 0, 0
	v_pk_mov_b32 v[46:47], v[44:45], v[44:45] op_sel:[0,1]
	v_pk_mov_b32 v[48:49], v[44:45], v[44:45] op_sel:[0,1]
	s_and_saveexec_b64 s[16:17], s[4:5]
	s_cbranch_execnz .LBB6_27
; %bb.22:                               ;   in Loop: Header=BB6_9 Depth=1
	s_or_b64 exec, exec, s[16:17]
	s_and_saveexec_b64 s[16:17], s[4:5]
	s_cbranch_execnz .LBB6_28
.LBB6_23:                               ;   in Loop: Header=BB6_9 Depth=1
	s_or_b64 exec, exec, s[16:17]
	s_and_saveexec_b64 s[6:7], vcc
	s_cbranch_execnz .LBB6_29
.LBB6_24:                               ;   in Loop: Header=BB6_9 Depth=1
	s_or_b64 exec, exec, s[6:7]
	s_and_saveexec_b64 s[6:7], s[0:1]
	s_cbranch_execnz .LBB6_30
.LBB6_25:                               ;   in Loop: Header=BB6_9 Depth=1
	s_or_b64 exec, exec, s[6:7]
	s_and_saveexec_b64 s[0:1], s[2:3]
	s_cbranch_execnz .LBB6_31
.LBB6_26:                               ;   in Loop: Header=BB6_9 Depth=1
	s_or_b64 exec, exec, s[0:1]
	s_and_saveexec_b64 s[0:1], s[4:5]
	s_cbranch_execz .LBB6_8
	s_branch .LBB6_32
.LBB6_27:                               ;   in Loop: Header=BB6_9 Depth=1
	v_mov_b32_e32 v46, s9
	v_add_co_u32_e64 v56, s[6:7], s8, v10
	v_addc_co_u32_e64 v57, s[6:7], v9, v46, s[6:7]
	v_add_co_u32_e64 v58, s[6:7], s8, v8
	v_addc_co_u32_e64 v59, s[6:7], v7, v46, s[6:7]
	global_load_dwordx2 v[46:47], v[58:59], off
	global_load_dwordx2 v[48:49], v[56:57], off
	s_or_b64 exec, exec, s[16:17]
	s_and_saveexec_b64 s[16:17], s[4:5]
	s_cbranch_execz .LBB6_23
.LBB6_28:                               ;   in Loop: Header=BB6_9 Depth=1
	v_mov_b32_e32 v45, s9
	v_add_co_u32_e64 v44, s[6:7], s8, v12
	v_addc_co_u32_e64 v45, s[6:7], v11, v45, s[6:7]
	global_load_dwordx2 v[44:45], v[44:45], off
	s_or_b64 exec, exec, s[16:17]
	s_and_saveexec_b64 s[6:7], vcc
	s_cbranch_execz .LBB6_24
.LBB6_29:                               ;   in Loop: Header=BB6_9 Depth=1
	v_mov_b32_e32 v55, s9
	v_add_co_u32_e32 v56, vcc, s8, v2
	v_addc_co_u32_e32 v57, vcc, v1, v55, vcc
	s_waitcnt vmcnt(0)
	v_add_f64 v[58:59], v[30:31], -v[28:29]
	v_add_f64 v[60:61], -v[26:27], 1.0
	v_fmac_f64_e32 v[28:29], v[58:59], v[26:27]
	v_fma_f64 v[30:31], -v[58:59], v[60:61], v[30:31]
	v_cmp_lt_f64_e64 vcc, |v[26:27]|, 0.5
	v_cndmask_b32_e32 v27, v31, v29, vcc
	v_cndmask_b32_e32 v26, v30, v28, vcc
	global_store_dwordx2 v[56:57], v[26:27], off
	s_or_b64 exec, exec, s[6:7]
	s_and_saveexec_b64 s[6:7], s[0:1]
	s_cbranch_execz .LBB6_25
.LBB6_30:                               ;   in Loop: Header=BB6_9 Depth=1
	s_waitcnt vmcnt(0)
	v_add_f64 v[26:27], v[36:37], -v[34:35]
	v_add_f64 v[28:29], -v[32:33], 1.0
	v_fmac_f64_e32 v[34:35], v[26:27], v[32:33]
	v_fma_f64 v[26:27], -v[26:27], v[28:29], v[36:37]
	v_cmp_lt_f64_e64 vcc, |v[32:33]|, 0.5
	v_cndmask_b32_e32 v27, v27, v35, vcc
	v_cndmask_b32_e32 v26, v26, v34, vcc
	v_mov_b32_e32 v29, s9
	v_add_co_u32_e32 v28, vcc, s8, v20
	v_addc_co_u32_e32 v29, vcc, v19, v29, vcc
	global_store_dwordx2 v[28:29], v[26:27], off
	s_or_b64 exec, exec, s[6:7]
	s_and_saveexec_b64 s[0:1], s[2:3]
	s_cbranch_execz .LBB6_26
.LBB6_31:                               ;   in Loop: Header=BB6_9 Depth=1
	s_waitcnt vmcnt(0)
	v_add_f64 v[26:27], v[42:43], -v[40:41]
	v_add_f64 v[28:29], -v[38:39], 1.0
	v_fmac_f64_e32 v[40:41], v[26:27], v[38:39]
	v_fma_f64 v[26:27], -v[26:27], v[28:29], v[42:43]
	v_cmp_lt_f64_e64 vcc, |v[38:39]|, 0.5
	v_cndmask_b32_e32 v27, v27, v41, vcc
	v_cndmask_b32_e32 v26, v26, v40, vcc
	v_mov_b32_e32 v29, s9
	v_add_co_u32_e32 v28, vcc, s8, v14
	v_addc_co_u32_e32 v29, vcc, v13, v29, vcc
	global_store_dwordx2 v[28:29], v[26:27], off
	s_or_b64 exec, exec, s[0:1]
	s_and_saveexec_b64 s[0:1], s[4:5]
	s_cbranch_execz .LBB6_8
.LBB6_32:                               ;   in Loop: Header=BB6_9 Depth=1
	s_waitcnt vmcnt(0)
	v_add_f64 v[26:27], v[48:49], -v[46:47]
	v_add_f64 v[28:29], -v[44:45], 1.0
	v_fmac_f64_e32 v[46:47], v[26:27], v[44:45]
	v_fma_f64 v[26:27], -v[26:27], v[28:29], v[48:49]
	v_cmp_lt_f64_e64 vcc, |v[44:45]|, 0.5
	v_cndmask_b32_e32 v27, v27, v47, vcc
	v_cndmask_b32_e32 v26, v26, v46, vcc
	v_mov_b32_e32 v29, s9
	v_add_co_u32_e32 v28, vcc, s8, v8
	v_addc_co_u32_e32 v29, vcc, v7, v29, vcc
	global_store_dwordx2 v[28:29], v[26:27], off
	s_branch .LBB6_8
.LBB6_33:
	s_endpgm
	.section	.rodata,"a",@progbits
	.p2align	6, 0x0
	.amdhsa_kernel _ZN2at6native12_GLOBAL__N_125multi_tensor_apply_kernelINS1_18TensorListMetadataILi3EEENS1_20TernaryOpListFunctorIdLi3ELi3ELi0EEEJNS0_11LerpFunctorIdEEEEEvT_T0_DpT1_
		.amdhsa_group_segment_fixed_size 0
		.amdhsa_private_segment_fixed_size 0
		.amdhsa_kernarg_size 3408
		.amdhsa_user_sgpr_count 6
		.amdhsa_user_sgpr_private_segment_buffer 1
		.amdhsa_user_sgpr_dispatch_ptr 0
		.amdhsa_user_sgpr_queue_ptr 0
		.amdhsa_user_sgpr_kernarg_segment_ptr 1
		.amdhsa_user_sgpr_dispatch_id 0
		.amdhsa_user_sgpr_flat_scratch_init 0
		.amdhsa_user_sgpr_kernarg_preload_length 0
		.amdhsa_user_sgpr_kernarg_preload_offset 0
		.amdhsa_user_sgpr_private_segment_size 0
		.amdhsa_uses_dynamic_stack 0
		.amdhsa_system_sgpr_private_segment_wavefront_offset 0
		.amdhsa_system_sgpr_workgroup_id_x 1
		.amdhsa_system_sgpr_workgroup_id_y 0
		.amdhsa_system_sgpr_workgroup_id_z 0
		.amdhsa_system_sgpr_workgroup_info 0
		.amdhsa_system_vgpr_workitem_id 0
		.amdhsa_next_free_vgpr 62
		.amdhsa_next_free_sgpr 32
		.amdhsa_accum_offset 64
		.amdhsa_reserve_vcc 1
		.amdhsa_reserve_flat_scratch 0
		.amdhsa_float_round_mode_32 0
		.amdhsa_float_round_mode_16_64 0
		.amdhsa_float_denorm_mode_32 3
		.amdhsa_float_denorm_mode_16_64 3
		.amdhsa_dx10_clamp 1
		.amdhsa_ieee_mode 1
		.amdhsa_fp16_overflow 0
		.amdhsa_tg_split 0
		.amdhsa_exception_fp_ieee_invalid_op 0
		.amdhsa_exception_fp_denorm_src 0
		.amdhsa_exception_fp_ieee_div_zero 0
		.amdhsa_exception_fp_ieee_overflow 0
		.amdhsa_exception_fp_ieee_underflow 0
		.amdhsa_exception_fp_ieee_inexact 0
		.amdhsa_exception_int_div_zero 0
	.end_amdhsa_kernel
	.section	.text._ZN2at6native12_GLOBAL__N_125multi_tensor_apply_kernelINS1_18TensorListMetadataILi3EEENS1_20TernaryOpListFunctorIdLi3ELi3ELi0EEEJNS0_11LerpFunctorIdEEEEEvT_T0_DpT1_,"axG",@progbits,_ZN2at6native12_GLOBAL__N_125multi_tensor_apply_kernelINS1_18TensorListMetadataILi3EEENS1_20TernaryOpListFunctorIdLi3ELi3ELi0EEEJNS0_11LerpFunctorIdEEEEEvT_T0_DpT1_,comdat
.Lfunc_end6:
	.size	_ZN2at6native12_GLOBAL__N_125multi_tensor_apply_kernelINS1_18TensorListMetadataILi3EEENS1_20TernaryOpListFunctorIdLi3ELi3ELi0EEEJNS0_11LerpFunctorIdEEEEEvT_T0_DpT1_, .Lfunc_end6-_ZN2at6native12_GLOBAL__N_125multi_tensor_apply_kernelINS1_18TensorListMetadataILi3EEENS1_20TernaryOpListFunctorIdLi3ELi3ELi0EEEJNS0_11LerpFunctorIdEEEEEvT_T0_DpT1_
                                        ; -- End function
	.section	.AMDGPU.csdata,"",@progbits
; Kernel info:
; codeLenInByte = 2132
; NumSgprs: 36
; NumVgprs: 62
; NumAgprs: 0
; TotalNumVgprs: 62
; ScratchSize: 0
; MemoryBound: 0
; FloatMode: 240
; IeeeMode: 1
; LDSByteSize: 0 bytes/workgroup (compile time only)
; SGPRBlocks: 4
; VGPRBlocks: 7
; NumSGPRsForWavesPerEU: 36
; NumVGPRsForWavesPerEU: 62
; AccumOffset: 64
; Occupancy: 8
; WaveLimiterHint : 0
; COMPUTE_PGM_RSRC2:SCRATCH_EN: 0
; COMPUTE_PGM_RSRC2:USER_SGPR: 6
; COMPUTE_PGM_RSRC2:TRAP_HANDLER: 0
; COMPUTE_PGM_RSRC2:TGID_X_EN: 1
; COMPUTE_PGM_RSRC2:TGID_Y_EN: 0
; COMPUTE_PGM_RSRC2:TGID_Z_EN: 0
; COMPUTE_PGM_RSRC2:TIDIG_COMP_CNT: 0
; COMPUTE_PGM_RSRC3_GFX90A:ACCUM_OFFSET: 15
; COMPUTE_PGM_RSRC3_GFX90A:TG_SPLIT: 0
	.section	.text._ZN2at6native12_GLOBAL__N_125multi_tensor_apply_kernelINS1_18TensorListMetadataILi3EEENS1_20TernaryOpListFunctorIfLi3ELi3ELi0EEEJNS0_11LerpFunctorIfEEEEEvT_T0_DpT1_,"axG",@progbits,_ZN2at6native12_GLOBAL__N_125multi_tensor_apply_kernelINS1_18TensorListMetadataILi3EEENS1_20TernaryOpListFunctorIfLi3ELi3ELi0EEEJNS0_11LerpFunctorIfEEEEEvT_T0_DpT1_,comdat
	.globl	_ZN2at6native12_GLOBAL__N_125multi_tensor_apply_kernelINS1_18TensorListMetadataILi3EEENS1_20TernaryOpListFunctorIfLi3ELi3ELi0EEEJNS0_11LerpFunctorIfEEEEEvT_T0_DpT1_ ; -- Begin function _ZN2at6native12_GLOBAL__N_125multi_tensor_apply_kernelINS1_18TensorListMetadataILi3EEENS1_20TernaryOpListFunctorIfLi3ELi3ELi0EEEJNS0_11LerpFunctorIfEEEEEvT_T0_DpT1_
	.p2align	8
	.type	_ZN2at6native12_GLOBAL__N_125multi_tensor_apply_kernelINS1_18TensorListMetadataILi3EEENS1_20TernaryOpListFunctorIfLi3ELi3ELi0EEEJNS0_11LerpFunctorIfEEEEEvT_T0_DpT1_,@function
_ZN2at6native12_GLOBAL__N_125multi_tensor_apply_kernelINS1_18TensorListMetadataILi3EEENS1_20TernaryOpListFunctorIfLi3ELi3ELi0EEEJNS0_11LerpFunctorIfEEEEEvT_T0_DpT1_: ; @_ZN2at6native12_GLOBAL__N_125multi_tensor_apply_kernelINS1_18TensorListMetadataILi3EEENS1_20TernaryOpListFunctorIfLi3ELi3ELi0EEEJNS0_11LerpFunctorIfEEEEEvT_T0_DpT1_
; %bb.0:
	v_mov_b32_e32 v1, s6
	global_load_ubyte v1, v1, s[4:5] offset:1536
	s_add_u32 s0, s4, s6
	s_mul_hi_u32 s2, s6, 3
	s_mul_i32 s6, s6, 3
	s_addc_u32 s7, s5, 0
	s_add_u32 s6, s0, s6
	s_addc_u32 s7, s7, s2
	s_load_dword s6, s[6:7], 0x740
	s_mov_b32 s1, 0
	s_mov_b32 s3, s1
	s_waitcnt lgkmcnt(0)
	s_ashr_i32 s7, s6, 31
	s_lshl_b64 s[8:9], s[6:7], 18
	s_waitcnt vmcnt(0)
	v_readfirstlane_b32 s0, v1
	s_lshl_b32 s0, s0, 3
	s_load_dwordx2 s[18:19], s[4:5], s0 offset:0x0
	s_load_dwordx2 s[16:17], s[4:5], s0 offset:0x180
	;; [unrolled: 1-line block ×4, first 2 shown]
	s_waitcnt lgkmcnt(0)
	s_and_b32 s0, s18, 15
	s_add_u32 s2, s16, s8
	s_or_b32 s2, s14, s2
	s_and_b32 s2, s2, 15
	s_cmp_lg_u32 s2, 0
	s_cselect_b64 s[20:21], -1, 0
	s_lshl_b64 s[6:7], s[6:7], 16
	s_sub_u32 s10, s12, s6
	s_subb_u32 s11, s13, s7
	s_and_b32 s2, s12, 3
	s_or_b64 s[2:3], s[0:1], s[2:3]
	s_cmp_lg_u64 s[2:3], 0
	s_cselect_b64 s[2:3], -1, 0
	s_or_b64 s[2:3], s[20:21], s[2:3]
	s_andn2_b64 vcc, exec, s[2:3]
	s_mov_b64 s[2:3], -1
	s_cbranch_vccz .LBB7_5
; %bb.1:
	v_mov_b32_e32 v3, 0
	v_lshlrev_b32_e32 v2, 2, v0
	v_cmp_gt_i64_e32 vcc, s[10:11], v[2:3]
	s_and_saveexec_b64 s[12:13], vcc
	s_cbranch_execz .LBB7_4
; %bb.2:
	s_load_dword s0, s[4:5], 0xc5c
	v_lshlrev_b32_e32 v1, 4, v0
	v_mov_b32_e32 v5, s9
	v_add_co_u32_e32 v4, vcc, s8, v1
	s_waitcnt lgkmcnt(0)
	s_and_b32 s0, s0, 0xffff
	s_lshl_b32 s24, s0, 2
	s_add_u32 s25, s18, 8
	s_addc_u32 s2, s19, 0
	s_lshl_b32 s26, s0, 4
	s_add_u32 s27, s16, 8
	s_addc_u32 s3, s17, 0
	v_add_lshl_u32 v2, v0, s0, 2
	v_addc_co_u32_e32 v1, vcc, 0, v5, vcc
	s_mov_b64 s[20:21], 0
	v_mov_b32_e32 v5, s2
	v_mov_b32_e32 v6, s3
	v_mov_b32_e32 v7, s15
	s_mov_b64 s[22:23], 0xffff
	v_mov_b32_e32 v8, s1
	v_mov_b32_e32 v9, s1
.LBB7_3:                                ; =>This Inner Loop Header: Depth=1
	v_add_co_u32_e32 v22, vcc, s25, v4
	v_addc_co_u32_e32 v23, vcc, v5, v1, vcc
	v_add_co_u32_e32 v24, vcc, s27, v4
	v_addc_co_u32_e32 v25, vcc, v6, v1, vcc
	;; [unrolled: 2-line block ×3, first 2 shown]
	global_load_dwordx4 v[10:13], v[22:23], off offset:-8
	global_load_dwordx4 v[14:17], v[24:25], off offset:-8
	global_load_dwordx4 v[18:21], v[26:27], off
	v_cmp_le_i64_e32 vcc, s[10:11], v[2:3]
	v_cmp_lt_u64_e64 s[0:1], s[22:23], v[2:3]
	v_add_co_u32_e64 v2, s[2:3], s24, v2
	v_addc_co_u32_e64 v3, s[2:3], v3, v8, s[2:3]
	v_add_co_u32_e64 v4, s[2:3], s26, v4
	s_or_b64 s[0:1], vcc, s[0:1]
	v_addc_co_u32_e64 v1, s[2:3], v1, v9, s[2:3]
	s_and_b64 s[0:1], exec, s[0:1]
	s_or_b64 s[20:21], s[0:1], s[20:21]
	s_waitcnt vmcnt(1)
	v_pk_add_f32 v[24:25], v[14:15], v[10:11] neg_lo:[0,1] neg_hi:[0,1]
	s_waitcnt vmcnt(0)
	v_pk_add_f32 v[26:27], v[18:19], 1.0 op_sel_hi:[1,0] neg_lo:[1,0] neg_hi:[1,0]
	v_pk_add_f32 v[28:29], v[16:17], v[12:13] neg_lo:[0,1] neg_hi:[0,1]
	v_pk_add_f32 v[30:31], v[20:21], 1.0 op_sel_hi:[1,0] neg_lo:[1,0] neg_hi:[1,0]
	v_pk_fma_f32 v[10:11], v[24:25], v[18:19], v[10:11]
	v_pk_fma_f32 v[14:15], v[24:25], v[26:27], v[14:15] neg_lo:[1,0,0] neg_hi:[1,0,0]
	v_cmp_lt_f32_e64 vcc, |v18|, 0.5
	v_pk_fma_f32 v[12:13], v[28:29], v[20:21], v[12:13]
	v_pk_fma_f32 v[16:17], v[28:29], v[30:31], v[16:17] neg_lo:[1,0,0] neg_hi:[1,0,0]
	v_cmp_lt_f32_e64 s[0:1], |v20|, 0.5
	v_cmp_lt_f32_e64 s[2:3], |v21|, 0.5
	;; [unrolled: 1-line block ×3, first 2 shown]
	v_cndmask_b32_e64 v11, v15, v11, s[6:7]
	v_cndmask_b32_e32 v10, v14, v10, vcc
	v_cndmask_b32_e64 v13, v17, v13, s[2:3]
	v_cndmask_b32_e64 v12, v16, v12, s[0:1]
	global_store_dwordx4 v[22:23], v[10:13], off offset:-8
	s_andn2_b64 exec, exec, s[20:21]
	s_cbranch_execnz .LBB7_3
.LBB7_4:
	s_or_b64 exec, exec, s[12:13]
	s_mov_b64 s[2:3], 0
.LBB7_5:
	s_andn2_b64 vcc, exec, s[2:3]
	s_cbranch_vccnz .LBB7_33
; %bb.6:
	v_cmp_lt_i64_e64 s[0:1], s[10:11], 1
	s_and_b64 vcc, exec, s[0:1]
	s_cbranch_vccnz .LBB7_33
; %bb.7:
	s_load_dword s0, s[4:5], 0xc5c
	v_mov_b32_e32 v2, 0x10000
	v_mov_b32_e32 v3, 0
	v_cmp_lt_u64_e32 vcc, s[10:11], v[2:3]
	v_lshlrev_b32_e32 v14, 2, v0
	s_waitcnt lgkmcnt(0)
	s_and_b32 s2, s0, 0xffff
	s_and_b64 s[0:1], vcc, exec
	v_mov_b32_e32 v19, s19
	v_add_co_u32_e32 v2, vcc, s18, v14
	v_addc_co_u32_e32 v1, vcc, 0, v19, vcc
	v_mov_b32_e32 v21, s17
	v_add_co_u32_e32 v4, vcc, s16, v14
	v_addc_co_u32_e32 v3, vcc, 0, v21, vcc
	v_mov_b32_e32 v15, 0
	v_mov_b32_e32 v23, s15
	v_add_co_u32_e32 v6, vcc, s14, v14
	v_addc_co_u32_e32 v5, vcc, 0, v23, vcc
	v_mad_u64_u32 v[12:13], s[0:1], s2, 12, v[14:15]
	v_add_co_u32_e32 v8, vcc, s18, v12
	v_addc_co_u32_e32 v7, vcc, v19, v13, vcc
	v_add_co_u32_e32 v10, vcc, s16, v12
	v_addc_co_u32_e32 v9, vcc, v21, v13, vcc
	v_add_co_u32_e32 v12, vcc, s14, v12
	s_mul_i32 s4, s2, 3
	v_addc_co_u32_e32 v11, vcc, v23, v13, vcc
	v_add_co_u32_e32 v25, vcc, s4, v0
	v_addc_co_u32_e64 v30, s[0:1], 0, 0, vcc
	s_cselect_b32 s13, s11, 0
	s_cselect_b32 s12, s10, 0x10000
	s_lshl_b32 s0, s2, 3
	v_add_co_u32_e32 v17, vcc, s0, v14
	v_addc_co_u32_e64 v20, s[0:1], 0, 0, vcc
	v_add_co_u32_e32 v14, vcc, s18, v17
	v_addc_co_u32_e32 v13, vcc, v19, v20, vcc
	v_add_co_u32_e32 v16, vcc, s16, v17
	v_addc_co_u32_e32 v15, vcc, v21, v20, vcc
	v_add_co_u32_e32 v18, vcc, s14, v17
	s_lshl_b32 s3, s2, 1
	v_addc_co_u32_e32 v17, vcc, v23, v20, vcc
	v_add_co_u32_e32 v31, vcc, s3, v0
	v_addc_co_u32_e64 v32, s[0:1], 0, 0, vcc
	v_add_co_u32_e32 v33, vcc, s2, v0
	v_lshlrev_b32_e32 v24, 2, v33
	v_addc_co_u32_e64 v34, s[0:1], 0, 0, vcc
	v_add_co_u32_e32 v20, vcc, s18, v24
	v_addc_co_u32_e32 v19, vcc, 0, v19, vcc
	v_add_co_u32_e32 v22, vcc, s16, v24
	v_addc_co_u32_e32 v21, vcc, 0, v21, vcc
	v_add_co_u32_e32 v24, vcc, s14, v24
	s_mov_b32 s20, 0
	s_lshl_b32 s21, s2, 2
	s_lshl_b32 s19, s2, 4
	v_addc_co_u32_e32 v23, vcc, 0, v23, vcc
	s_mov_b64 s[14:15], 0
	v_mov_b32_e32 v27, 1.0
	s_branch .LBB7_9
.LBB7_8:                                ;   in Loop: Header=BB7_9 Depth=1
	s_or_b64 exec, exec, s[0:1]
	s_add_u32 s14, s14, s21
	s_addc_u32 s15, s15, 0
	s_waitcnt vmcnt(0)
	v_pk_mov_b32 v[28:29], s[10:11], s[10:11] op_sel:[0,1]
	v_cmp_ge_i64_e32 vcc, s[14:15], v[28:29]
	v_mov_b32_e32 v28, 0xffff
	v_mov_b32_e32 v29, 0
	v_cmp_gt_u64_e64 s[0:1], s[14:15], v[28:29]
	s_or_b64 s[0:1], vcc, s[0:1]
	v_mov_b32_e32 v26, s20
	v_add_co_u32_e32 v2, vcc, s19, v2
	v_addc_co_u32_e32 v1, vcc, v1, v26, vcc
	v_add_co_u32_e32 v4, vcc, s19, v4
	v_addc_co_u32_e32 v3, vcc, v3, v26, vcc
	;; [unrolled: 2-line block ×12, first 2 shown]
	s_and_b64 vcc, exec, s[0:1]
	s_cbranch_vccnz .LBB7_33
.LBB7_9:                                ; =>This Inner Loop Header: Depth=1
	v_mov_b32_e32 v26, s15
	v_add_co_u32_e32 v28, vcc, s14, v0
	v_addc_co_u32_e32 v29, vcc, 0, v26, vcc
	v_cmp_gt_u64_e32 vcc, s[12:13], v[28:29]
	v_mov_b32_e32 v28, 0
	v_mov_b32_e32 v26, 0
	s_and_saveexec_b64 s[2:3], vcc
	s_cbranch_execz .LBB7_11
; %bb.10:                               ;   in Loop: Header=BB7_9 Depth=1
	v_mov_b32_e32 v26, s9
	v_add_co_u32_e64 v36, s[0:1], s8, v4
	v_addc_co_u32_e64 v37, s[0:1], v3, v26, s[0:1]
	v_add_co_u32_e64 v38, s[0:1], s8, v2
	v_addc_co_u32_e64 v39, s[0:1], v1, v26, s[0:1]
	global_load_dword v28, v[38:39], off
	global_load_dword v26, v[36:37], off
.LBB7_11:                               ;   in Loop: Header=BB7_9 Depth=1
	s_or_b64 exec, exec, s[2:3]
	v_mov_b32_e32 v35, 0
	v_mov_b32_e32 v29, 0
	s_and_saveexec_b64 s[2:3], vcc
	s_cbranch_execz .LBB7_13
; %bb.12:                               ;   in Loop: Header=BB7_9 Depth=1
	v_mov_b32_e32 v29, s9
	v_add_co_u32_e64 v36, s[0:1], s8, v6
	v_addc_co_u32_e64 v37, s[0:1], v5, v29, s[0:1]
	global_load_dword v29, v[36:37], off
.LBB7_13:                               ;   in Loop: Header=BB7_9 Depth=1
	s_or_b64 exec, exec, s[2:3]
	v_mov_b32_e32 v37, s15
	v_add_co_u32_e64 v36, s[0:1], s14, v33
	v_addc_co_u32_e64 v37, s[0:1], v34, v37, s[0:1]
	v_cmp_gt_u64_e64 s[0:1], s[12:13], v[36:37]
	v_mov_b32_e32 v36, 0
	s_and_saveexec_b64 s[4:5], s[0:1]
	s_cbranch_execz .LBB7_15
; %bb.14:                               ;   in Loop: Header=BB7_9 Depth=1
	v_mov_b32_e32 v35, s9
	v_add_co_u32_e64 v38, s[2:3], s8, v22
	v_addc_co_u32_e64 v39, s[2:3], v21, v35, s[2:3]
	v_add_co_u32_e64 v40, s[2:3], s8, v20
	v_addc_co_u32_e64 v41, s[2:3], v19, v35, s[2:3]
	global_load_dword v35, v[40:41], off
	global_load_dword v36, v[38:39], off
.LBB7_15:                               ;   in Loop: Header=BB7_9 Depth=1
	s_or_b64 exec, exec, s[4:5]
	v_mov_b32_e32 v37, 0
	v_mov_b32_e32 v38, 0
	s_and_saveexec_b64 s[4:5], s[0:1]
	s_cbranch_execz .LBB7_17
; %bb.16:                               ;   in Loop: Header=BB7_9 Depth=1
	v_mov_b32_e32 v39, s9
	v_add_co_u32_e64 v38, s[2:3], s8, v24
	v_addc_co_u32_e64 v39, s[2:3], v23, v39, s[2:3]
	global_load_dword v38, v[38:39], off
.LBB7_17:                               ;   in Loop: Header=BB7_9 Depth=1
	s_or_b64 exec, exec, s[4:5]
	v_mov_b32_e32 v39, s15
	v_add_co_u32_e64 v40, s[2:3], s14, v31
	v_addc_co_u32_e64 v41, s[2:3], v32, v39, s[2:3]
	v_cmp_gt_u64_e64 s[2:3], s[12:13], v[40:41]
	v_mov_b32_e32 v39, 0
	s_and_saveexec_b64 s[6:7], s[2:3]
	s_cbranch_execz .LBB7_19
; %bb.18:                               ;   in Loop: Header=BB7_9 Depth=1
	v_mov_b32_e32 v37, s9
	v_add_co_u32_e64 v40, s[4:5], s8, v16
	v_addc_co_u32_e64 v41, s[4:5], v15, v37, s[4:5]
	v_add_co_u32_e64 v42, s[4:5], s8, v14
	v_addc_co_u32_e64 v43, s[4:5], v13, v37, s[4:5]
	global_load_dword v37, v[42:43], off
	global_load_dword v39, v[40:41], off
.LBB7_19:                               ;   in Loop: Header=BB7_9 Depth=1
	s_or_b64 exec, exec, s[6:7]
	v_mov_b32_e32 v40, 0
	v_mov_b32_e32 v41, 0
	s_and_saveexec_b64 s[6:7], s[2:3]
	s_cbranch_execz .LBB7_21
; %bb.20:                               ;   in Loop: Header=BB7_9 Depth=1
	v_mov_b32_e32 v41, s9
	v_add_co_u32_e64 v42, s[4:5], s8, v18
	v_addc_co_u32_e64 v43, s[4:5], v17, v41, s[4:5]
	global_load_dword v41, v[42:43], off
.LBB7_21:                               ;   in Loop: Header=BB7_9 Depth=1
	s_or_b64 exec, exec, s[6:7]
	v_mov_b32_e32 v43, s15
	v_add_co_u32_e64 v42, s[4:5], s14, v25
	v_addc_co_u32_e64 v43, s[4:5], v30, v43, s[4:5]
	v_cmp_gt_u64_e64 s[4:5], s[12:13], v[42:43]
	v_mov_b32_e32 v42, 0
	s_and_saveexec_b64 s[16:17], s[4:5]
	s_cbranch_execnz .LBB7_27
; %bb.22:                               ;   in Loop: Header=BB7_9 Depth=1
	s_or_b64 exec, exec, s[16:17]
	v_mov_b32_e32 v43, 0
	s_and_saveexec_b64 s[16:17], s[4:5]
	s_cbranch_execnz .LBB7_28
.LBB7_23:                               ;   in Loop: Header=BB7_9 Depth=1
	s_or_b64 exec, exec, s[16:17]
	s_and_saveexec_b64 s[6:7], vcc
	s_cbranch_execnz .LBB7_29
.LBB7_24:                               ;   in Loop: Header=BB7_9 Depth=1
	s_or_b64 exec, exec, s[6:7]
	s_and_saveexec_b64 s[6:7], s[0:1]
	s_cbranch_execnz .LBB7_30
.LBB7_25:                               ;   in Loop: Header=BB7_9 Depth=1
	s_or_b64 exec, exec, s[6:7]
	s_and_saveexec_b64 s[0:1], s[2:3]
	s_cbranch_execnz .LBB7_31
.LBB7_26:                               ;   in Loop: Header=BB7_9 Depth=1
	s_or_b64 exec, exec, s[0:1]
	s_and_saveexec_b64 s[0:1], s[4:5]
	s_cbranch_execz .LBB7_8
	s_branch .LBB7_32
.LBB7_27:                               ;   in Loop: Header=BB7_9 Depth=1
	v_mov_b32_e32 v40, s9
	v_add_co_u32_e64 v44, s[6:7], s8, v10
	v_addc_co_u32_e64 v45, s[6:7], v9, v40, s[6:7]
	v_add_co_u32_e64 v46, s[6:7], s8, v8
	v_addc_co_u32_e64 v47, s[6:7], v7, v40, s[6:7]
	global_load_dword v40, v[46:47], off
	global_load_dword v42, v[44:45], off
	s_or_b64 exec, exec, s[16:17]
	v_mov_b32_e32 v43, 0
	s_and_saveexec_b64 s[16:17], s[4:5]
	s_cbranch_execz .LBB7_23
.LBB7_28:                               ;   in Loop: Header=BB7_9 Depth=1
	v_mov_b32_e32 v43, s9
	v_add_co_u32_e64 v44, s[6:7], s8, v12
	v_addc_co_u32_e64 v45, s[6:7], v11, v43, s[6:7]
	global_load_dword v43, v[44:45], off
	s_or_b64 exec, exec, s[16:17]
	s_and_saveexec_b64 s[6:7], vcc
	s_cbranch_execz .LBB7_24
.LBB7_29:                               ;   in Loop: Header=BB7_9 Depth=1
	v_mov_b32_e32 v45, s9
	v_add_co_u32_e32 v44, vcc, s8, v2
	v_addc_co_u32_e32 v45, vcc, v1, v45, vcc
	s_waitcnt vmcnt(0)
	v_pk_add_f32 v[46:47], v[26:27], v[28:29] neg_lo:[0,1] neg_hi:[0,1]
	v_fmac_f32_e32 v28, v46, v29
	v_fma_f32 v26, -v46, v47, v26
	v_cmp_lt_f32_e64 vcc, |v29|, 0.5
	v_cndmask_b32_e32 v26, v26, v28, vcc
	global_store_dword v[44:45], v26, off
	s_or_b64 exec, exec, s[6:7]
	s_and_saveexec_b64 s[6:7], s[0:1]
	s_cbranch_execz .LBB7_25
.LBB7_30:                               ;   in Loop: Header=BB7_9 Depth=1
	s_waitcnt vmcnt(0)
	v_sub_f32_e32 v26, v36, v35
	v_sub_f32_e32 v28, 1.0, v38
	v_fmac_f32_e32 v35, v26, v38
	v_fma_f32 v26, -v26, v28, v36
	v_cmp_lt_f32_e64 vcc, |v38|, 0.5
	v_cndmask_b32_e32 v26, v26, v35, vcc
	v_mov_b32_e32 v29, s9
	v_add_co_u32_e32 v28, vcc, s8, v20
	v_addc_co_u32_e32 v29, vcc, v19, v29, vcc
	global_store_dword v[28:29], v26, off
	s_or_b64 exec, exec, s[6:7]
	s_and_saveexec_b64 s[0:1], s[2:3]
	s_cbranch_execz .LBB7_26
.LBB7_31:                               ;   in Loop: Header=BB7_9 Depth=1
	s_waitcnt vmcnt(0)
	v_sub_f32_e32 v26, v39, v37
	v_sub_f32_e32 v28, 1.0, v41
	v_fmac_f32_e32 v37, v26, v41
	v_fma_f32 v26, -v26, v28, v39
	v_cmp_lt_f32_e64 vcc, |v41|, 0.5
	v_cndmask_b32_e32 v26, v26, v37, vcc
	v_mov_b32_e32 v29, s9
	v_add_co_u32_e32 v28, vcc, s8, v14
	v_addc_co_u32_e32 v29, vcc, v13, v29, vcc
	global_store_dword v[28:29], v26, off
	s_or_b64 exec, exec, s[0:1]
	s_and_saveexec_b64 s[0:1], s[4:5]
	s_cbranch_execz .LBB7_8
.LBB7_32:                               ;   in Loop: Header=BB7_9 Depth=1
	s_waitcnt vmcnt(0)
	v_sub_f32_e32 v26, v42, v40
	v_sub_f32_e32 v28, 1.0, v43
	v_fmac_f32_e32 v40, v26, v43
	v_fma_f32 v26, -v26, v28, v42
	v_cmp_lt_f32_e64 vcc, |v43|, 0.5
	v_cndmask_b32_e32 v26, v26, v40, vcc
	v_mov_b32_e32 v29, s9
	v_add_co_u32_e32 v28, vcc, s8, v8
	v_addc_co_u32_e32 v29, vcc, v7, v29, vcc
	global_store_dword v[28:29], v26, off
	s_branch .LBB7_8
.LBB7_33:
	s_endpgm
	.section	.rodata,"a",@progbits
	.p2align	6, 0x0
	.amdhsa_kernel _ZN2at6native12_GLOBAL__N_125multi_tensor_apply_kernelINS1_18TensorListMetadataILi3EEENS1_20TernaryOpListFunctorIfLi3ELi3ELi0EEEJNS0_11LerpFunctorIfEEEEEvT_T0_DpT1_
		.amdhsa_group_segment_fixed_size 0
		.amdhsa_private_segment_fixed_size 0
		.amdhsa_kernarg_size 3408
		.amdhsa_user_sgpr_count 6
		.amdhsa_user_sgpr_private_segment_buffer 1
		.amdhsa_user_sgpr_dispatch_ptr 0
		.amdhsa_user_sgpr_queue_ptr 0
		.amdhsa_user_sgpr_kernarg_segment_ptr 1
		.amdhsa_user_sgpr_dispatch_id 0
		.amdhsa_user_sgpr_flat_scratch_init 0
		.amdhsa_user_sgpr_kernarg_preload_length 0
		.amdhsa_user_sgpr_kernarg_preload_offset 0
		.amdhsa_user_sgpr_private_segment_size 0
		.amdhsa_uses_dynamic_stack 0
		.amdhsa_system_sgpr_private_segment_wavefront_offset 0
		.amdhsa_system_sgpr_workgroup_id_x 1
		.amdhsa_system_sgpr_workgroup_id_y 0
		.amdhsa_system_sgpr_workgroup_id_z 0
		.amdhsa_system_sgpr_workgroup_info 0
		.amdhsa_system_vgpr_workitem_id 0
		.amdhsa_next_free_vgpr 48
		.amdhsa_next_free_sgpr 28
		.amdhsa_accum_offset 48
		.amdhsa_reserve_vcc 1
		.amdhsa_reserve_flat_scratch 0
		.amdhsa_float_round_mode_32 0
		.amdhsa_float_round_mode_16_64 0
		.amdhsa_float_denorm_mode_32 3
		.amdhsa_float_denorm_mode_16_64 3
		.amdhsa_dx10_clamp 1
		.amdhsa_ieee_mode 1
		.amdhsa_fp16_overflow 0
		.amdhsa_tg_split 0
		.amdhsa_exception_fp_ieee_invalid_op 0
		.amdhsa_exception_fp_denorm_src 0
		.amdhsa_exception_fp_ieee_div_zero 0
		.amdhsa_exception_fp_ieee_overflow 0
		.amdhsa_exception_fp_ieee_underflow 0
		.amdhsa_exception_fp_ieee_inexact 0
		.amdhsa_exception_int_div_zero 0
	.end_amdhsa_kernel
	.section	.text._ZN2at6native12_GLOBAL__N_125multi_tensor_apply_kernelINS1_18TensorListMetadataILi3EEENS1_20TernaryOpListFunctorIfLi3ELi3ELi0EEEJNS0_11LerpFunctorIfEEEEEvT_T0_DpT1_,"axG",@progbits,_ZN2at6native12_GLOBAL__N_125multi_tensor_apply_kernelINS1_18TensorListMetadataILi3EEENS1_20TernaryOpListFunctorIfLi3ELi3ELi0EEEJNS0_11LerpFunctorIfEEEEEvT_T0_DpT1_,comdat
.Lfunc_end7:
	.size	_ZN2at6native12_GLOBAL__N_125multi_tensor_apply_kernelINS1_18TensorListMetadataILi3EEENS1_20TernaryOpListFunctorIfLi3ELi3ELi0EEEJNS0_11LerpFunctorIfEEEEEvT_T0_DpT1_, .Lfunc_end7-_ZN2at6native12_GLOBAL__N_125multi_tensor_apply_kernelINS1_18TensorListMetadataILi3EEENS1_20TernaryOpListFunctorIfLi3ELi3ELi0EEEJNS0_11LerpFunctorIfEEEEEvT_T0_DpT1_
                                        ; -- End function
	.section	.AMDGPU.csdata,"",@progbits
; Kernel info:
; codeLenInByte = 1916
; NumSgprs: 32
; NumVgprs: 48
; NumAgprs: 0
; TotalNumVgprs: 48
; ScratchSize: 0
; MemoryBound: 0
; FloatMode: 240
; IeeeMode: 1
; LDSByteSize: 0 bytes/workgroup (compile time only)
; SGPRBlocks: 3
; VGPRBlocks: 5
; NumSGPRsForWavesPerEU: 32
; NumVGPRsForWavesPerEU: 48
; AccumOffset: 48
; Occupancy: 8
; WaveLimiterHint : 0
; COMPUTE_PGM_RSRC2:SCRATCH_EN: 0
; COMPUTE_PGM_RSRC2:USER_SGPR: 6
; COMPUTE_PGM_RSRC2:TRAP_HANDLER: 0
; COMPUTE_PGM_RSRC2:TGID_X_EN: 1
; COMPUTE_PGM_RSRC2:TGID_Y_EN: 0
; COMPUTE_PGM_RSRC2:TGID_Z_EN: 0
; COMPUTE_PGM_RSRC2:TIDIG_COMP_CNT: 0
; COMPUTE_PGM_RSRC3_GFX90A:ACCUM_OFFSET: 11
; COMPUTE_PGM_RSRC3_GFX90A:TG_SPLIT: 0
	.section	.text._ZN2at6native12_GLOBAL__N_125multi_tensor_apply_kernelINS1_18TensorListMetadataILi3EEENS1_20TernaryOpListFunctorIN3c107complexIdEELi3ELi3ELi0EEEJNS0_11LerpFunctorIS8_EEEEEvT_T0_DpT1_,"axG",@progbits,_ZN2at6native12_GLOBAL__N_125multi_tensor_apply_kernelINS1_18TensorListMetadataILi3EEENS1_20TernaryOpListFunctorIN3c107complexIdEELi3ELi3ELi0EEEJNS0_11LerpFunctorIS8_EEEEEvT_T0_DpT1_,comdat
	.globl	_ZN2at6native12_GLOBAL__N_125multi_tensor_apply_kernelINS1_18TensorListMetadataILi3EEENS1_20TernaryOpListFunctorIN3c107complexIdEELi3ELi3ELi0EEEJNS0_11LerpFunctorIS8_EEEEEvT_T0_DpT1_ ; -- Begin function _ZN2at6native12_GLOBAL__N_125multi_tensor_apply_kernelINS1_18TensorListMetadataILi3EEENS1_20TernaryOpListFunctorIN3c107complexIdEELi3ELi3ELi0EEEJNS0_11LerpFunctorIS8_EEEEEvT_T0_DpT1_
	.p2align	8
	.type	_ZN2at6native12_GLOBAL__N_125multi_tensor_apply_kernelINS1_18TensorListMetadataILi3EEENS1_20TernaryOpListFunctorIN3c107complexIdEELi3ELi3ELi0EEEJNS0_11LerpFunctorIS8_EEEEEvT_T0_DpT1_,@function
_ZN2at6native12_GLOBAL__N_125multi_tensor_apply_kernelINS1_18TensorListMetadataILi3EEENS1_20TernaryOpListFunctorIN3c107complexIdEELi3ELi3ELi0EEEJNS0_11LerpFunctorIS8_EEEEEvT_T0_DpT1_: ; @_ZN2at6native12_GLOBAL__N_125multi_tensor_apply_kernelINS1_18TensorListMetadataILi3EEENS1_20TernaryOpListFunctorIN3c107complexIdEELi3ELi3ELi0EEEJNS0_11LerpFunctorIS8_EEEEEvT_T0_DpT1_
; %bb.0:
	v_mov_b32_e32 v1, s6
	global_load_ubyte v1, v1, s[4:5] offset:1536
	s_add_u32 s0, s4, s6
	s_mul_hi_u32 s1, s6, 3
	s_mul_i32 s6, s6, 3
	s_addc_u32 s2, s5, 0
	s_add_u32 s0, s0, s6
	s_addc_u32 s1, s2, s1
	s_load_dword s0, s[0:1], 0x740
	s_mov_b32 s13, 0
	s_mov_b32 s15, s13
	s_waitcnt lgkmcnt(0)
	s_ashr_i32 s1, s0, 31
	s_lshl_b64 s[8:9], s[0:1], 20
	s_waitcnt vmcnt(0)
	v_readfirstlane_b32 s2, v1
	s_lshl_b32 s10, s2, 3
	s_load_dwordx2 s[2:3], s[4:5], s10 offset:0x0
	s_load_dwordx2 s[6:7], s[4:5], s10 offset:0x180
	s_load_dwordx2 s[18:19], s[4:5], s10 offset:0x480
	s_load_dwordx2 s[16:17], s[4:5], s10 offset:0x300
	s_waitcnt lgkmcnt(0)
	s_add_u32 s24, s2, s8
	s_addc_u32 s25, s3, s9
	s_add_u32 s26, s6, s8
	s_addc_u32 s27, s7, s9
	;; [unrolled: 2-line block ×3, first 2 shown]
	s_or_b32 s10, s28, s26
	s_lshl_b64 s[0:1], s[0:1], 16
	s_and_b32 s12, s24, 63
	s_and_b32 s10, s10, 63
	s_cmp_lg_u32 s10, 0
	s_cselect_b64 s[20:21], -1, 0
	s_sub_u32 s10, s18, s0
	s_subb_u32 s11, s19, s1
	s_and_b32 s14, s18, 3
	s_or_b64 s[0:1], s[12:13], s[14:15]
	s_cmp_lg_u64 s[0:1], 0
	s_cselect_b64 s[0:1], -1, 0
	s_or_b64 s[0:1], s[20:21], s[0:1]
	s_andn2_b64 vcc, exec, s[0:1]
	s_mov_b64 s[0:1], -1
	s_cbranch_vccz .LBB8_21
; %bb.1:
	v_mov_b32_e32 v55, 0
	v_lshlrev_b32_e32 v54, 2, v0
	v_cmp_gt_i64_e32 vcc, s[10:11], v[54:55]
	s_and_saveexec_b64 s[14:15], vcc
	s_cbranch_execz .LBB8_20
; %bb.2:
	s_load_dword s0, s[4:5], 0xc5c
	s_mov_b32 s20, 0
	v_lshlrev_b32_e32 v56, 6, v0
	s_mov_b64 s[18:19], 0
	s_mov_b32 s21, 0x3fd00000
	s_waitcnt lgkmcnt(0)
	s_and_b32 s0, s0, 0xffff
	v_add_lshl_u32 v54, v0, s0, 2
	s_lshl_b32 s12, s0, 2
	s_lshl_b32 s30, s0, 6
	s_mov_b64 s[22:23], 0xffff
	s_branch .LBB8_4
.LBB8_3:                                ;   in Loop: Header=BB8_4 Depth=1
	s_or_b64 exec, exec, s[0:1]
	v_cmp_le_i64_e32 vcc, s[10:11], v[54:55]
	v_cmp_lt_u64_e64 s[0:1], s[22:23], v[54:55]
	s_or_b64 s[0:1], vcc, s[0:1]
	s_add_u32 s24, s24, s30
	s_addc_u32 s25, s25, 0
	s_add_u32 s28, s28, s30
	s_addc_u32 s29, s29, 0
	;; [unrolled: 2-line block ×3, first 2 shown]
	v_mov_b32_e32 v1, s13
	s_and_b64 s[0:1], exec, s[0:1]
	v_add_co_u32_e32 v54, vcc, s12, v54
	s_or_b64 s[18:19], s[0:1], s[18:19]
	v_addc_co_u32_e32 v55, vcc, v55, v1, vcc
	global_store_dwordx4 v[58:59], v[10:13], off
	global_store_dwordx4 v[58:59], v[22:25], off offset:16
	global_store_dwordx4 v[58:59], v[34:37], off offset:32
	;; [unrolled: 1-line block ×3, first 2 shown]
	s_andn2_b64 exec, exec, s[18:19]
	s_cbranch_execz .LBB8_20
.LBB8_4:                                ; =>This Inner Loop Header: Depth=1
	v_mov_b32_e32 v1, s25
	v_add_co_u32_e32 v58, vcc, s24, v56
	v_addc_co_u32_e32 v59, vcc, 0, v1, vcc
	global_load_dwordx4 v[2:5], v[58:59], off offset:48
	global_load_dwordx4 v[18:21], v[58:59], off offset:32
	;; [unrolled: 1-line block ×3, first 2 shown]
	global_load_dwordx4 v[22:25], v[58:59], off
	v_mov_b32_e32 v1, s27
	v_add_co_u32_e32 v10, vcc, s26, v56
	v_addc_co_u32_e32 v11, vcc, 0, v1, vcc
	v_mov_b32_e32 v1, s29
	v_add_co_u32_e32 v12, vcc, s28, v56
	v_addc_co_u32_e32 v13, vcc, 0, v1, vcc
	global_load_dwordx4 v[38:41], v[12:13], off offset:16
	global_load_dwordx4 v[46:49], v[12:13], off
	global_load_dwordx4 v[42:45], v[10:11], off offset:16
	global_load_dwordx4 v[50:53], v[10:11], off
	global_load_dwordx4 v[14:17], v[10:11], off offset:48
	global_load_dwordx4 v[30:33], v[10:11], off offset:32
	;; [unrolled: 1-line block ×4, first 2 shown]
                                        ; implicit-def: $vgpr12_vgpr13
	s_waitcnt vmcnt(6)
	v_mul_f64 v[10:11], v[48:49], v[48:49]
	v_fmac_f64_e32 v[10:11], v[46:47], v[46:47]
	s_waitcnt vmcnt(4)
	v_add_f64 v[62:63], v[50:51], -v[22:23]
	v_cmp_ngt_f64_e32 vcc, s[20:21], v[10:11]
	v_add_f64 v[60:61], v[52:53], -v[24:25]
	s_and_saveexec_b64 s[0:1], vcc
	s_xor_b64 s[0:1], exec, s[0:1]
; %bb.5:                                ;   in Loop: Header=BB8_4 Depth=1
	v_add_f64 v[12:13], -v[48:49], 0
	v_add_f64 v[10:11], -v[46:47], 1.0
	v_mul_f64 v[22:23], v[60:61], v[12:13]
	v_mul_f64 v[12:13], v[62:63], v[12:13]
	v_fma_f64 v[22:23], v[62:63], v[10:11], -v[22:23]
	v_fmac_f64_e32 v[12:13], v[60:61], v[10:11]
	v_add_f64 v[10:11], v[50:51], -v[22:23]
	v_add_f64 v[12:13], v[52:53], -v[12:13]
                                        ; implicit-def: $vgpr60_vgpr61
                                        ; implicit-def: $vgpr48_vgpr49
                                        ; implicit-def: $vgpr62_vgpr63
                                        ; implicit-def: $vgpr22_vgpr23
; %bb.6:                                ;   in Loop: Header=BB8_4 Depth=1
	s_andn2_saveexec_b64 s[0:1], s[0:1]
; %bb.7:                                ;   in Loop: Header=BB8_4 Depth=1
	v_mul_f64 v[10:11], v[60:61], v[48:49]
	v_mul_f64 v[12:13], v[62:63], v[48:49]
	v_fma_f64 v[10:11], v[62:63], v[46:47], -v[10:11]
	v_fmac_f64_e32 v[12:13], v[60:61], v[46:47]
	v_add_f64 v[10:11], v[22:23], v[10:11]
	v_add_f64 v[12:13], v[24:25], v[12:13]
; %bb.8:                                ;   in Loop: Header=BB8_4 Depth=1
	s_or_b64 exec, exec, s[0:1]
	v_mul_f64 v[22:23], v[40:41], v[40:41]
	v_fmac_f64_e32 v[22:23], v[38:39], v[38:39]
	v_cmp_ngt_f64_e32 vcc, s[20:21], v[22:23]
	v_add_f64 v[48:49], v[42:43], -v[34:35]
	v_add_f64 v[46:47], v[44:45], -v[36:37]
                                        ; implicit-def: $vgpr24_vgpr25
	s_and_saveexec_b64 s[0:1], vcc
	s_xor_b64 s[0:1], exec, s[0:1]
; %bb.9:                                ;   in Loop: Header=BB8_4 Depth=1
	v_add_f64 v[24:25], -v[40:41], 0
	v_add_f64 v[22:23], -v[38:39], 1.0
	v_mul_f64 v[34:35], v[46:47], v[24:25]
	v_mul_f64 v[24:25], v[48:49], v[24:25]
	v_fma_f64 v[34:35], v[48:49], v[22:23], -v[34:35]
	v_fmac_f64_e32 v[24:25], v[46:47], v[22:23]
	v_add_f64 v[22:23], v[42:43], -v[34:35]
	v_add_f64 v[24:25], v[44:45], -v[24:25]
                                        ; implicit-def: $vgpr46_vgpr47
                                        ; implicit-def: $vgpr40_vgpr41
                                        ; implicit-def: $vgpr48_vgpr49
                                        ; implicit-def: $vgpr34_vgpr35
; %bb.10:                               ;   in Loop: Header=BB8_4 Depth=1
	s_andn2_saveexec_b64 s[0:1], s[0:1]
; %bb.11:                               ;   in Loop: Header=BB8_4 Depth=1
	v_mul_f64 v[22:23], v[46:47], v[40:41]
	v_mul_f64 v[24:25], v[48:49], v[40:41]
	v_fma_f64 v[22:23], v[48:49], v[38:39], -v[22:23]
	v_fmac_f64_e32 v[24:25], v[46:47], v[38:39]
	v_add_f64 v[22:23], v[34:35], v[22:23]
	v_add_f64 v[24:25], v[36:37], v[24:25]
; %bb.12:                               ;   in Loop: Header=BB8_4 Depth=1
	s_or_b64 exec, exec, s[0:1]
	s_waitcnt vmcnt(0)
	v_mul_f64 v[34:35], v[28:29], v[28:29]
	v_fmac_f64_e32 v[34:35], v[26:27], v[26:27]
	v_cmp_ngt_f64_e32 vcc, s[20:21], v[34:35]
	v_add_f64 v[40:41], v[30:31], -v[18:19]
	v_add_f64 v[38:39], v[32:33], -v[20:21]
                                        ; implicit-def: $vgpr36_vgpr37
	s_and_saveexec_b64 s[0:1], vcc
	s_xor_b64 s[0:1], exec, s[0:1]
; %bb.13:                               ;   in Loop: Header=BB8_4 Depth=1
	v_add_f64 v[20:21], -v[28:29], 0
	v_add_f64 v[18:19], -v[26:27], 1.0
	v_mul_f64 v[26:27], v[38:39], v[20:21]
	v_mul_f64 v[20:21], v[40:41], v[20:21]
	v_fma_f64 v[26:27], v[40:41], v[18:19], -v[26:27]
	v_fmac_f64_e32 v[20:21], v[38:39], v[18:19]
	v_add_f64 v[34:35], v[30:31], -v[26:27]
	v_add_f64 v[36:37], v[32:33], -v[20:21]
                                        ; implicit-def: $vgpr38_vgpr39
                                        ; implicit-def: $vgpr28_vgpr29
                                        ; implicit-def: $vgpr40_vgpr41
                                        ; implicit-def: $vgpr18_vgpr19
; %bb.14:                               ;   in Loop: Header=BB8_4 Depth=1
	s_andn2_saveexec_b64 s[0:1], s[0:1]
; %bb.15:                               ;   in Loop: Header=BB8_4 Depth=1
	v_mul_f64 v[30:31], v[38:39], v[28:29]
	v_mul_f64 v[28:29], v[40:41], v[28:29]
	v_fma_f64 v[30:31], v[40:41], v[26:27], -v[30:31]
	v_fmac_f64_e32 v[28:29], v[38:39], v[26:27]
	v_add_f64 v[34:35], v[18:19], v[30:31]
	v_add_f64 v[36:37], v[20:21], v[28:29]
; %bb.16:                               ;   in Loop: Header=BB8_4 Depth=1
	s_or_b64 exec, exec, s[0:1]
	v_mul_f64 v[18:19], v[8:9], v[8:9]
	v_fmac_f64_e32 v[18:19], v[6:7], v[6:7]
	v_cmp_ngt_f64_e32 vcc, s[20:21], v[18:19]
	v_add_f64 v[28:29], v[14:15], -v[2:3]
	v_add_f64 v[26:27], v[16:17], -v[4:5]
                                        ; implicit-def: $vgpr20_vgpr21
	s_and_saveexec_b64 s[0:1], vcc
	s_xor_b64 s[0:1], exec, s[0:1]
; %bb.17:                               ;   in Loop: Header=BB8_4 Depth=1
	v_add_f64 v[4:5], -v[8:9], 0
	v_add_f64 v[2:3], -v[6:7], 1.0
	v_mul_f64 v[6:7], v[26:27], v[4:5]
	v_mul_f64 v[4:5], v[28:29], v[4:5]
	v_fma_f64 v[6:7], v[28:29], v[2:3], -v[6:7]
	v_fmac_f64_e32 v[4:5], v[26:27], v[2:3]
	v_add_f64 v[18:19], v[14:15], -v[6:7]
	v_add_f64 v[20:21], v[16:17], -v[4:5]
                                        ; implicit-def: $vgpr26_vgpr27
                                        ; implicit-def: $vgpr8_vgpr9
                                        ; implicit-def: $vgpr28_vgpr29
                                        ; implicit-def: $vgpr2_vgpr3
; %bb.18:                               ;   in Loop: Header=BB8_4 Depth=1
	s_andn2_saveexec_b64 s[0:1], s[0:1]
	s_cbranch_execz .LBB8_3
; %bb.19:                               ;   in Loop: Header=BB8_4 Depth=1
	v_mul_f64 v[14:15], v[26:27], v[8:9]
	v_mul_f64 v[8:9], v[28:29], v[8:9]
	v_fma_f64 v[14:15], v[28:29], v[6:7], -v[14:15]
	v_fmac_f64_e32 v[8:9], v[26:27], v[6:7]
	v_add_f64 v[18:19], v[2:3], v[14:15]
	v_add_f64 v[20:21], v[4:5], v[8:9]
	s_branch .LBB8_3
.LBB8_20:
	s_or_b64 exec, exec, s[14:15]
	s_mov_b64 s[0:1], 0
.LBB8_21:
	s_andn2_b64 vcc, exec, s[0:1]
	s_cbranch_vccnz .LBB8_65
; %bb.22:
	v_cmp_lt_i64_e64 s[0:1], s[10:11], 1
	s_and_b64 vcc, exec, s[0:1]
	s_cbranch_vccnz .LBB8_65
; %bb.23:
	s_load_dword s0, s[4:5], 0xc5c
	v_mov_b32_e32 v2, 0x10000
	v_mov_b32_e32 v3, 0
	v_lshlrev_b32_e32 v4, 4, v0
	v_cmp_lt_u64_e32 vcc, s[10:11], v[2:3]
	s_waitcnt lgkmcnt(0)
	s_and_b32 s23, s0, 0xffff
	v_or_b32_e32 v2, 8, v4
	s_and_b64 s[0:1], vcc, exec
	v_mov_b32_e32 v5, s7
	v_add_co_u32_e32 v54, vcc, s6, v2
	v_addc_co_u32_e32 v55, vcc, 0, v5, vcc
	v_mov_b32_e32 v6, s3
	v_add_co_u32_e32 v56, vcc, s2, v2
	v_addc_co_u32_e32 v57, vcc, 0, v6, vcc
	v_add_lshl_u32 v7, v0, s23, 4
	v_mov_b32_e32 v8, s17
	v_add_co_u32_e32 v58, vcc, s16, v7
	v_addc_co_u32_e32 v59, vcc, 0, v8, vcc
	v_add_co_u32_e32 v60, vcc, s16, v2
	v_mov_b32_e32 v1, 0
	v_addc_co_u32_e32 v61, vcc, 0, v8, vcc
	v_mov_b32_e32 v3, v1
	v_add_co_u32_e32 v62, vcc, s2, v7
	v_addc_co_u32_e32 v63, vcc, 0, v6, vcc
	v_mad_u64_u32 v[2:3], s[0:1], s23, 48, v[2:3]
	v_add_co_u32_e32 v64, vcc, s6, v2
	v_addc_co_u32_e32 v65, vcc, v5, v3, vcc
	v_add_co_u32_e32 v66, vcc, s6, v7
	v_addc_co_u32_e32 v67, vcc, 0, v5, vcc
	;; [unrolled: 2-line block ×3, first 2 shown]
	v_add_co_u32_e32 v70, vcc, s16, v2
	s_cselect_b32 s13, s11, 0
	s_cselect_b32 s12, s10, 0x10000
	v_addc_co_u32_e32 v71, vcc, v8, v3, vcc
	s_lshl_b32 s0, s23, 5
	v_add_co_u32_e32 v2, vcc, s0, v4
	v_addc_co_u32_e64 v3, s[0:1], 0, 0, vcc
	v_add_co_u32_e32 v72, vcc, s16, v2
	v_addc_co_u32_e32 v73, vcc, v8, v3, vcc
	v_or_b32_e32 v2, 8, v2
	v_add_co_u32_e32 v74, vcc, s6, v2
	s_mov_b32 s22, 0
	v_addc_co_u32_e32 v75, vcc, v5, v3, vcc
	s_lshl_b32 s14, s23, 2
	s_mov_b32 s15, s22
	v_add_co_u32_e32 v76, vcc, s2, v2
	s_mov_b32 s16, 0
	s_lshl_b32 s24, s23, 1
	s_mov_b32 s25, s22
	s_mul_i32 s26, s23, 3
	s_mov_b32 s27, s22
	s_lshl_b32 s28, s23, 6
	s_mov_b32 s29, s22
	v_addc_co_u32_e32 v77, vcc, v6, v3, vcc
	s_mov_b32 s17, 0x3fd00000
	s_mov_b64 s[18:19], s[14:15]
	s_branch .LBB8_25
.LBB8_24:                               ;   in Loop: Header=BB8_25 Depth=1
	s_or_b64 exec, exec, s[0:1]
	v_pk_mov_b32 v[2:3], s[10:11], s[10:11] op_sel:[0,1]
	v_cmp_ge_i64_e32 vcc, s[18:19], v[2:3]
	v_mov_b32_e32 v2, 0xffff
	v_mov_b32_e32 v3, 0
	v_cmp_gt_u64_e64 s[0:1], s[18:19], v[2:3]
	s_or_b64 s[0:1], vcc, s[0:1]
	v_mov_b32_e32 v2, s15
	v_add_co_u32_e32 v0, vcc, s14, v0
	v_addc_co_u32_e32 v1, vcc, v1, v2, vcc
	v_mov_b32_e32 v2, s29
	v_add_co_u32_e32 v54, vcc, s28, v54
	v_addc_co_u32_e32 v55, vcc, v55, v2, vcc
	v_add_co_u32_e32 v56, vcc, s28, v56
	v_addc_co_u32_e32 v57, vcc, v57, v2, vcc
	;; [unrolled: 2-line block ×11, first 2 shown]
	v_add_co_u32_e32 v76, vcc, s28, v76
	s_add_u32 s18, s18, s14
	v_addc_co_u32_e32 v77, vcc, v77, v2, vcc
	s_addc_u32 s19, s19, 0
	s_and_b64 vcc, exec, s[0:1]
	s_cbranch_vccnz .LBB8_65
.LBB8_25:                               ; =>This Inner Loop Header: Depth=1
	v_pk_mov_b32 v[4:5], 0, 0
	v_cmp_gt_u64_e32 vcc, s[12:13], v[0:1]
	v_pk_mov_b32 v[20:21], v[4:5], v[4:5] op_sel:[0,1]
	v_pk_mov_b32 v[18:19], v[4:5], v[4:5] op_sel:[0,1]
	;; [unrolled: 1-line block ×4, first 2 shown]
	s_and_saveexec_b64 s[2:3], vcc
	s_cbranch_execz .LBB8_27
; %bb.26:                               ;   in Loop: Header=BB8_25 Depth=1
	v_mov_b32_e32 v6, s9
	v_add_co_u32_e64 v2, s[0:1], s8, v54
	v_addc_co_u32_e64 v3, s[0:1], v55, v6, s[0:1]
	v_add_co_u32_e64 v10, s[0:1], s8, v56
	v_addc_co_u32_e64 v11, s[0:1], v57, v6, s[0:1]
	global_load_dwordx4 v[6:9], v[10:11], off offset:-8
	global_load_dwordx4 v[18:21], v[2:3], off offset:-8
.LBB8_27:                               ;   in Loop: Header=BB8_25 Depth=1
	s_or_b64 exec, exec, s[2:3]
	v_pk_mov_b32 v[2:3], v[4:5], v[4:5] op_sel:[0,1]
	s_and_saveexec_b64 s[2:3], vcc
	s_cbranch_execz .LBB8_29
; %bb.28:                               ;   in Loop: Header=BB8_25 Depth=1
	v_mov_b32_e32 v3, s9
	v_add_co_u32_e64 v2, s[0:1], s8, v60
	v_addc_co_u32_e64 v3, s[0:1], v61, v3, s[0:1]
	global_load_dwordx4 v[2:5], v[2:3], off offset:-8
.LBB8_29:                               ;   in Loop: Header=BB8_25 Depth=1
	s_or_b64 exec, exec, s[2:3]
	v_mov_b32_e32 v11, s22
	v_add_co_u32_e64 v10, s[0:1], s23, v0
	v_addc_co_u32_e64 v11, s[0:1], v11, v1, s[0:1]
	v_pk_mov_b32 v[12:13], 0, 0
	v_cmp_gt_u64_e64 s[0:1], s[12:13], v[10:11]
	v_pk_mov_b32 v[28:29], v[12:13], v[12:13] op_sel:[0,1]
	v_pk_mov_b32 v[26:27], v[12:13], v[12:13] op_sel:[0,1]
	;; [unrolled: 1-line block ×4, first 2 shown]
	s_and_saveexec_b64 s[4:5], s[0:1]
	s_cbranch_execz .LBB8_31
; %bb.30:                               ;   in Loop: Header=BB8_25 Depth=1
	v_mov_b32_e32 v14, s9
	v_add_co_u32_e64 v10, s[2:3], s8, v66
	v_addc_co_u32_e64 v11, s[2:3], v67, v14, s[2:3]
	v_add_co_u32_e64 v22, s[2:3], s8, v62
	v_addc_co_u32_e64 v23, s[2:3], v63, v14, s[2:3]
	global_load_dwordx4 v[14:17], v[22:23], off
	global_load_dwordx4 v[26:29], v[10:11], off
.LBB8_31:                               ;   in Loop: Header=BB8_25 Depth=1
	s_or_b64 exec, exec, s[4:5]
	v_pk_mov_b32 v[10:11], v[12:13], v[12:13] op_sel:[0,1]
	s_and_saveexec_b64 s[4:5], s[0:1]
	s_cbranch_execz .LBB8_33
; %bb.32:                               ;   in Loop: Header=BB8_25 Depth=1
	v_mov_b32_e32 v11, s9
	v_add_co_u32_e64 v10, s[2:3], s8, v58
	v_addc_co_u32_e64 v11, s[2:3], v59, v11, s[2:3]
	global_load_dwordx4 v[10:13], v[10:11], off
.LBB8_33:                               ;   in Loop: Header=BB8_25 Depth=1
	s_or_b64 exec, exec, s[4:5]
	v_mov_b32_e32 v23, s25
	v_add_co_u32_e64 v22, s[2:3], s24, v0
	v_addc_co_u32_e64 v23, s[2:3], v23, v1, s[2:3]
	v_pk_mov_b32 v[24:25], 0, 0
	v_cmp_gt_u64_e64 s[2:3], s[12:13], v[22:23]
	v_pk_mov_b32 v[40:41], v[24:25], v[24:25] op_sel:[0,1]
	v_pk_mov_b32 v[38:39], v[24:25], v[24:25] op_sel:[0,1]
	;; [unrolled: 1-line block ×4, first 2 shown]
	s_and_saveexec_b64 s[6:7], s[2:3]
	s_cbranch_execz .LBB8_35
; %bb.34:                               ;   in Loop: Header=BB8_25 Depth=1
	v_mov_b32_e32 v30, s9
	v_add_co_u32_e64 v22, s[4:5], s8, v74
	v_addc_co_u32_e64 v23, s[4:5], v75, v30, s[4:5]
	v_add_co_u32_e64 v34, s[4:5], s8, v76
	v_addc_co_u32_e64 v35, s[4:5], v77, v30, s[4:5]
	global_load_dwordx4 v[30:33], v[34:35], off offset:-8
	global_load_dwordx4 v[38:41], v[22:23], off offset:-8
.LBB8_35:                               ;   in Loop: Header=BB8_25 Depth=1
	s_or_b64 exec, exec, s[6:7]
	v_pk_mov_b32 v[22:23], v[24:25], v[24:25] op_sel:[0,1]
	s_and_saveexec_b64 s[6:7], s[2:3]
	s_cbranch_execz .LBB8_37
; %bb.36:                               ;   in Loop: Header=BB8_25 Depth=1
	v_mov_b32_e32 v23, s9
	v_add_co_u32_e64 v22, s[4:5], s8, v72
	v_addc_co_u32_e64 v23, s[4:5], v73, v23, s[4:5]
	global_load_dwordx4 v[22:25], v[22:23], off
.LBB8_37:                               ;   in Loop: Header=BB8_25 Depth=1
	s_or_b64 exec, exec, s[6:7]
	v_mov_b32_e32 v35, s27
	v_add_co_u32_e64 v34, s[4:5], s26, v0
	v_addc_co_u32_e64 v35, s[4:5], v35, v1, s[4:5]
	v_pk_mov_b32 v[36:37], 0, 0
	v_cmp_gt_u64_e64 s[4:5], s[12:13], v[34:35]
	v_pk_mov_b32 v[48:49], v[36:37], v[36:37] op_sel:[0,1]
	v_pk_mov_b32 v[46:47], v[36:37], v[36:37] op_sel:[0,1]
	;; [unrolled: 1-line block ×4, first 2 shown]
	s_and_saveexec_b64 s[20:21], s[4:5]
	s_cbranch_execz .LBB8_39
; %bb.38:                               ;   in Loop: Header=BB8_25 Depth=1
	v_mov_b32_e32 v42, s9
	v_add_co_u32_e64 v34, s[6:7], s8, v64
	v_addc_co_u32_e64 v35, s[6:7], v65, v42, s[6:7]
	v_add_co_u32_e64 v50, s[6:7], s8, v68
	v_addc_co_u32_e64 v51, s[6:7], v69, v42, s[6:7]
	global_load_dwordx4 v[42:45], v[50:51], off offset:-8
	global_load_dwordx4 v[46:49], v[34:35], off offset:-8
.LBB8_39:                               ;   in Loop: Header=BB8_25 Depth=1
	s_or_b64 exec, exec, s[20:21]
	v_pk_mov_b32 v[34:35], v[36:37], v[36:37] op_sel:[0,1]
	s_and_saveexec_b64 s[20:21], s[4:5]
	s_cbranch_execz .LBB8_41
; %bb.40:                               ;   in Loop: Header=BB8_25 Depth=1
	v_mov_b32_e32 v35, s9
	v_add_co_u32_e64 v34, s[6:7], s8, v70
	v_addc_co_u32_e64 v35, s[6:7], v71, v35, s[6:7]
	global_load_dwordx4 v[34:37], v[34:35], off offset:-8
.LBB8_41:                               ;   in Loop: Header=BB8_25 Depth=1
	s_or_b64 exec, exec, s[20:21]
	s_waitcnt vmcnt(0)
	v_mul_f64 v[50:51], v[2:3], v[2:3]
	v_fmac_f64_e32 v[50:51], v[4:5], v[4:5]
	v_cmp_ngt_f64_e64 s[6:7], s[16:17], v[50:51]
	v_add_f64 v[78:79], v[18:19], -v[6:7]
	v_add_f64 v[80:81], v[20:21], -v[8:9]
                                        ; implicit-def: $vgpr52_vgpr53
	s_and_saveexec_b64 s[20:21], s[6:7]
	s_xor_b64 s[6:7], exec, s[20:21]
; %bb.42:                               ;   in Loop: Header=BB8_25 Depth=1
	v_add_f64 v[4:5], -v[4:5], 0
	v_add_f64 v[2:3], -v[2:3], 1.0
	v_mul_f64 v[6:7], v[80:81], v[4:5]
	v_fma_f64 v[6:7], v[78:79], v[2:3], -v[6:7]
	v_mul_f64 v[2:3], v[80:81], v[2:3]
	v_fmac_f64_e32 v[2:3], v[78:79], v[4:5]
	v_add_f64 v[50:51], v[18:19], -v[6:7]
	v_add_f64 v[52:53], v[20:21], -v[2:3]
                                        ; implicit-def: $vgpr80_vgpr81
                                        ; implicit-def: $vgpr4_vgpr5
                                        ; implicit-def: $vgpr78_vgpr79
                                        ; implicit-def: $vgpr6_vgpr7
; %bb.43:                               ;   in Loop: Header=BB8_25 Depth=1
	s_andn2_saveexec_b64 s[6:7], s[6:7]
; %bb.44:                               ;   in Loop: Header=BB8_25 Depth=1
	v_mul_f64 v[18:19], v[80:81], v[4:5]
	v_fma_f64 v[18:19], v[78:79], v[2:3], -v[18:19]
	v_mul_f64 v[2:3], v[80:81], v[2:3]
	v_fmac_f64_e32 v[2:3], v[78:79], v[4:5]
	v_add_f64 v[50:51], v[6:7], v[18:19]
	v_add_f64 v[52:53], v[8:9], v[2:3]
; %bb.45:                               ;   in Loop: Header=BB8_25 Depth=1
	s_or_b64 exec, exec, s[6:7]
	v_mul_f64 v[2:3], v[10:11], v[10:11]
	v_fmac_f64_e32 v[2:3], v[12:13], v[12:13]
	v_cmp_ngt_f64_e64 s[6:7], s[16:17], v[2:3]
	v_add_f64 v[6:7], v[26:27], -v[14:15]
	v_add_f64 v[8:9], v[28:29], -v[16:17]
                                        ; implicit-def: $vgpr4_vgpr5
	s_and_saveexec_b64 s[20:21], s[6:7]
	s_xor_b64 s[6:7], exec, s[20:21]
; %bb.46:                               ;   in Loop: Header=BB8_25 Depth=1
	v_add_f64 v[2:3], -v[10:11], 1.0
	v_add_f64 v[4:5], -v[12:13], 0
	v_mul_f64 v[10:11], v[8:9], v[4:5]
	v_mul_f64 v[8:9], v[8:9], v[2:3]
	v_fma_f64 v[10:11], v[6:7], v[2:3], -v[10:11]
	v_fmac_f64_e32 v[8:9], v[6:7], v[4:5]
	v_add_f64 v[2:3], v[26:27], -v[10:11]
	v_add_f64 v[4:5], v[28:29], -v[8:9]
                                        ; implicit-def: $vgpr8_vgpr9
                                        ; implicit-def: $vgpr12_vgpr13
                                        ; implicit-def: $vgpr6_vgpr7
                                        ; implicit-def: $vgpr14_vgpr15
; %bb.47:                               ;   in Loop: Header=BB8_25 Depth=1
	s_andn2_saveexec_b64 s[6:7], s[6:7]
; %bb.48:                               ;   in Loop: Header=BB8_25 Depth=1
	v_mul_f64 v[2:3], v[8:9], v[12:13]
	v_mul_f64 v[4:5], v[8:9], v[10:11]
	v_fma_f64 v[2:3], v[6:7], v[10:11], -v[2:3]
	v_fmac_f64_e32 v[4:5], v[6:7], v[12:13]
	v_add_f64 v[2:3], v[14:15], v[2:3]
	v_add_f64 v[4:5], v[16:17], v[4:5]
; %bb.49:                               ;   in Loop: Header=BB8_25 Depth=1
	s_or_b64 exec, exec, s[6:7]
	v_mul_f64 v[6:7], v[22:23], v[22:23]
	v_fmac_f64_e32 v[6:7], v[24:25], v[24:25]
	v_cmp_ngt_f64_e64 s[6:7], s[16:17], v[6:7]
	v_add_f64 v[10:11], v[38:39], -v[30:31]
	v_add_f64 v[12:13], v[40:41], -v[32:33]
                                        ; implicit-def: $vgpr8_vgpr9
	s_and_saveexec_b64 s[20:21], s[6:7]
	s_xor_b64 s[6:7], exec, s[20:21]
; %bb.50:                               ;   in Loop: Header=BB8_25 Depth=1
	v_add_f64 v[6:7], -v[22:23], 1.0
	v_add_f64 v[8:9], -v[24:25], 0
	v_mul_f64 v[14:15], v[12:13], v[8:9]
	v_mul_f64 v[12:13], v[12:13], v[6:7]
	v_fma_f64 v[14:15], v[10:11], v[6:7], -v[14:15]
	v_fmac_f64_e32 v[12:13], v[10:11], v[8:9]
	v_add_f64 v[6:7], v[38:39], -v[14:15]
	v_add_f64 v[8:9], v[40:41], -v[12:13]
                                        ; implicit-def: $vgpr12_vgpr13
                                        ; implicit-def: $vgpr24_vgpr25
                                        ; implicit-def: $vgpr10_vgpr11
                                        ; implicit-def: $vgpr30_vgpr31
; %bb.51:                               ;   in Loop: Header=BB8_25 Depth=1
	s_andn2_saveexec_b64 s[6:7], s[6:7]
; %bb.52:                               ;   in Loop: Header=BB8_25 Depth=1
	v_mul_f64 v[6:7], v[12:13], v[24:25]
	v_mul_f64 v[8:9], v[12:13], v[22:23]
	v_fma_f64 v[6:7], v[10:11], v[22:23], -v[6:7]
	v_fmac_f64_e32 v[8:9], v[10:11], v[24:25]
	v_add_f64 v[6:7], v[30:31], v[6:7]
	v_add_f64 v[8:9], v[32:33], v[8:9]
; %bb.53:                               ;   in Loop: Header=BB8_25 Depth=1
	s_or_b64 exec, exec, s[6:7]
	v_mul_f64 v[10:11], v[34:35], v[34:35]
	v_fmac_f64_e32 v[10:11], v[36:37], v[36:37]
	v_cmp_ngt_f64_e64 s[6:7], s[16:17], v[10:11]
	v_add_f64 v[14:15], v[46:47], -v[42:43]
	v_add_f64 v[16:17], v[48:49], -v[44:45]
                                        ; implicit-def: $vgpr12_vgpr13
	s_and_saveexec_b64 s[20:21], s[6:7]
	s_xor_b64 s[6:7], exec, s[20:21]
	s_cbranch_execnz .LBB8_59
; %bb.54:                               ;   in Loop: Header=BB8_25 Depth=1
	s_andn2_saveexec_b64 s[6:7], s[6:7]
	s_cbranch_execnz .LBB8_60
.LBB8_55:                               ;   in Loop: Header=BB8_25 Depth=1
	s_or_b64 exec, exec, s[6:7]
	s_and_saveexec_b64 s[6:7], vcc
	s_xor_b64 s[6:7], exec, s[6:7]
	s_cbranch_execnz .LBB8_61
.LBB8_56:                               ;   in Loop: Header=BB8_25 Depth=1
	s_or_b64 exec, exec, s[6:7]
	s_and_saveexec_b64 s[6:7], s[0:1]
	s_cbranch_execnz .LBB8_62
.LBB8_57:                               ;   in Loop: Header=BB8_25 Depth=1
	s_or_b64 exec, exec, s[6:7]
	s_and_saveexec_b64 s[0:1], s[2:3]
	s_cbranch_execnz .LBB8_63
.LBB8_58:                               ;   in Loop: Header=BB8_25 Depth=1
	s_or_b64 exec, exec, s[0:1]
	s_and_saveexec_b64 s[0:1], s[4:5]
	s_cbranch_execz .LBB8_24
	s_branch .LBB8_64
.LBB8_59:                               ;   in Loop: Header=BB8_25 Depth=1
	v_add_f64 v[10:11], -v[34:35], 1.0
	v_add_f64 v[12:13], -v[36:37], 0
	v_mul_f64 v[18:19], v[16:17], v[12:13]
	v_mul_f64 v[16:17], v[16:17], v[10:11]
	v_fma_f64 v[18:19], v[14:15], v[10:11], -v[18:19]
	v_fmac_f64_e32 v[16:17], v[14:15], v[12:13]
	v_add_f64 v[10:11], v[46:47], -v[18:19]
	v_add_f64 v[12:13], v[48:49], -v[16:17]
                                        ; implicit-def: $vgpr16_vgpr17
                                        ; implicit-def: $vgpr36_vgpr37
                                        ; implicit-def: $vgpr14_vgpr15
                                        ; implicit-def: $vgpr42_vgpr43
	s_andn2_saveexec_b64 s[6:7], s[6:7]
	s_cbranch_execz .LBB8_55
.LBB8_60:                               ;   in Loop: Header=BB8_25 Depth=1
	v_mul_f64 v[10:11], v[16:17], v[36:37]
	v_mul_f64 v[12:13], v[16:17], v[34:35]
	v_fma_f64 v[10:11], v[14:15], v[34:35], -v[10:11]
	v_fmac_f64_e32 v[12:13], v[14:15], v[36:37]
	v_add_f64 v[10:11], v[42:43], v[10:11]
	v_add_f64 v[12:13], v[44:45], v[12:13]
	s_or_b64 exec, exec, s[6:7]
	s_and_saveexec_b64 s[6:7], vcc
	s_xor_b64 s[6:7], exec, s[6:7]
	s_cbranch_execz .LBB8_56
.LBB8_61:                               ;   in Loop: Header=BB8_25 Depth=1
	v_mov_b32_e32 v15, s9
	v_add_co_u32_e32 v14, vcc, s8, v56
	v_addc_co_u32_e32 v15, vcc, v57, v15, vcc
	global_store_dwordx4 v[14:15], v[50:53], off offset:-8
	s_or_b64 exec, exec, s[6:7]
	s_and_saveexec_b64 s[6:7], s[0:1]
	s_cbranch_execz .LBB8_57
.LBB8_62:                               ;   in Loop: Header=BB8_25 Depth=1
	v_mov_b32_e32 v15, s9
	v_add_co_u32_e32 v14, vcc, s8, v62
	v_addc_co_u32_e32 v15, vcc, v63, v15, vcc
	global_store_dwordx4 v[14:15], v[2:5], off
	s_or_b64 exec, exec, s[6:7]
	s_and_saveexec_b64 s[0:1], s[2:3]
	s_cbranch_execz .LBB8_58
.LBB8_63:                               ;   in Loop: Header=BB8_25 Depth=1
	v_mov_b32_e32 v3, s9
	v_add_co_u32_e32 v2, vcc, s8, v76
	v_addc_co_u32_e32 v3, vcc, v77, v3, vcc
	global_store_dwordx4 v[2:3], v[6:9], off offset:-8
	s_or_b64 exec, exec, s[0:1]
	s_and_saveexec_b64 s[0:1], s[4:5]
	s_cbranch_execz .LBB8_24
.LBB8_64:                               ;   in Loop: Header=BB8_25 Depth=1
	v_mov_b32_e32 v3, s9
	v_add_co_u32_e32 v2, vcc, s8, v68
	v_addc_co_u32_e32 v3, vcc, v69, v3, vcc
	global_store_dwordx4 v[2:3], v[10:13], off offset:-8
	s_branch .LBB8_24
.LBB8_65:
	s_endpgm
	.section	.rodata,"a",@progbits
	.p2align	6, 0x0
	.amdhsa_kernel _ZN2at6native12_GLOBAL__N_125multi_tensor_apply_kernelINS1_18TensorListMetadataILi3EEENS1_20TernaryOpListFunctorIN3c107complexIdEELi3ELi3ELi0EEEJNS0_11LerpFunctorIS8_EEEEEvT_T0_DpT1_
		.amdhsa_group_segment_fixed_size 0
		.amdhsa_private_segment_fixed_size 0
		.amdhsa_kernarg_size 3408
		.amdhsa_user_sgpr_count 6
		.amdhsa_user_sgpr_private_segment_buffer 1
		.amdhsa_user_sgpr_dispatch_ptr 0
		.amdhsa_user_sgpr_queue_ptr 0
		.amdhsa_user_sgpr_kernarg_segment_ptr 1
		.amdhsa_user_sgpr_dispatch_id 0
		.amdhsa_user_sgpr_flat_scratch_init 0
		.amdhsa_user_sgpr_kernarg_preload_length 0
		.amdhsa_user_sgpr_kernarg_preload_offset 0
		.amdhsa_user_sgpr_private_segment_size 0
		.amdhsa_uses_dynamic_stack 0
		.amdhsa_system_sgpr_private_segment_wavefront_offset 0
		.amdhsa_system_sgpr_workgroup_id_x 1
		.amdhsa_system_sgpr_workgroup_id_y 0
		.amdhsa_system_sgpr_workgroup_id_z 0
		.amdhsa_system_sgpr_workgroup_info 0
		.amdhsa_system_vgpr_workitem_id 0
		.amdhsa_next_free_vgpr 82
		.amdhsa_next_free_sgpr 31
		.amdhsa_accum_offset 84
		.amdhsa_reserve_vcc 1
		.amdhsa_reserve_flat_scratch 0
		.amdhsa_float_round_mode_32 0
		.amdhsa_float_round_mode_16_64 0
		.amdhsa_float_denorm_mode_32 3
		.amdhsa_float_denorm_mode_16_64 3
		.amdhsa_dx10_clamp 1
		.amdhsa_ieee_mode 1
		.amdhsa_fp16_overflow 0
		.amdhsa_tg_split 0
		.amdhsa_exception_fp_ieee_invalid_op 0
		.amdhsa_exception_fp_denorm_src 0
		.amdhsa_exception_fp_ieee_div_zero 0
		.amdhsa_exception_fp_ieee_overflow 0
		.amdhsa_exception_fp_ieee_underflow 0
		.amdhsa_exception_fp_ieee_inexact 0
		.amdhsa_exception_int_div_zero 0
	.end_amdhsa_kernel
	.section	.text._ZN2at6native12_GLOBAL__N_125multi_tensor_apply_kernelINS1_18TensorListMetadataILi3EEENS1_20TernaryOpListFunctorIN3c107complexIdEELi3ELi3ELi0EEEJNS0_11LerpFunctorIS8_EEEEEvT_T0_DpT1_,"axG",@progbits,_ZN2at6native12_GLOBAL__N_125multi_tensor_apply_kernelINS1_18TensorListMetadataILi3EEENS1_20TernaryOpListFunctorIN3c107complexIdEELi3ELi3ELi0EEEJNS0_11LerpFunctorIS8_EEEEEvT_T0_DpT1_,comdat
.Lfunc_end8:
	.size	_ZN2at6native12_GLOBAL__N_125multi_tensor_apply_kernelINS1_18TensorListMetadataILi3EEENS1_20TernaryOpListFunctorIN3c107complexIdEELi3ELi3ELi0EEEJNS0_11LerpFunctorIS8_EEEEEvT_T0_DpT1_, .Lfunc_end8-_ZN2at6native12_GLOBAL__N_125multi_tensor_apply_kernelINS1_18TensorListMetadataILi3EEENS1_20TernaryOpListFunctorIN3c107complexIdEELi3ELi3ELi0EEEJNS0_11LerpFunctorIS8_EEEEEvT_T0_DpT1_
                                        ; -- End function
	.section	.AMDGPU.csdata,"",@progbits
; Kernel info:
; codeLenInByte = 3148
; NumSgprs: 35
; NumVgprs: 82
; NumAgprs: 0
; TotalNumVgprs: 82
; ScratchSize: 0
; MemoryBound: 1
; FloatMode: 240
; IeeeMode: 1
; LDSByteSize: 0 bytes/workgroup (compile time only)
; SGPRBlocks: 4
; VGPRBlocks: 10
; NumSGPRsForWavesPerEU: 35
; NumVGPRsForWavesPerEU: 82
; AccumOffset: 84
; Occupancy: 5
; WaveLimiterHint : 0
; COMPUTE_PGM_RSRC2:SCRATCH_EN: 0
; COMPUTE_PGM_RSRC2:USER_SGPR: 6
; COMPUTE_PGM_RSRC2:TRAP_HANDLER: 0
; COMPUTE_PGM_RSRC2:TGID_X_EN: 1
; COMPUTE_PGM_RSRC2:TGID_Y_EN: 0
; COMPUTE_PGM_RSRC2:TGID_Z_EN: 0
; COMPUTE_PGM_RSRC2:TIDIG_COMP_CNT: 0
; COMPUTE_PGM_RSRC3_GFX90A:ACCUM_OFFSET: 20
; COMPUTE_PGM_RSRC3_GFX90A:TG_SPLIT: 0
	.section	.text._ZN2at6native12_GLOBAL__N_125multi_tensor_apply_kernelINS1_18TensorListMetadataILi3EEENS1_20TernaryOpListFunctorIN3c107complexIfEELi3ELi3ELi0EEEJNS0_11LerpFunctorIS8_EEEEEvT_T0_DpT1_,"axG",@progbits,_ZN2at6native12_GLOBAL__N_125multi_tensor_apply_kernelINS1_18TensorListMetadataILi3EEENS1_20TernaryOpListFunctorIN3c107complexIfEELi3ELi3ELi0EEEJNS0_11LerpFunctorIS8_EEEEEvT_T0_DpT1_,comdat
	.globl	_ZN2at6native12_GLOBAL__N_125multi_tensor_apply_kernelINS1_18TensorListMetadataILi3EEENS1_20TernaryOpListFunctorIN3c107complexIfEELi3ELi3ELi0EEEJNS0_11LerpFunctorIS8_EEEEEvT_T0_DpT1_ ; -- Begin function _ZN2at6native12_GLOBAL__N_125multi_tensor_apply_kernelINS1_18TensorListMetadataILi3EEENS1_20TernaryOpListFunctorIN3c107complexIfEELi3ELi3ELi0EEEJNS0_11LerpFunctorIS8_EEEEEvT_T0_DpT1_
	.p2align	8
	.type	_ZN2at6native12_GLOBAL__N_125multi_tensor_apply_kernelINS1_18TensorListMetadataILi3EEENS1_20TernaryOpListFunctorIN3c107complexIfEELi3ELi3ELi0EEEJNS0_11LerpFunctorIS8_EEEEEvT_T0_DpT1_,@function
_ZN2at6native12_GLOBAL__N_125multi_tensor_apply_kernelINS1_18TensorListMetadataILi3EEENS1_20TernaryOpListFunctorIN3c107complexIfEELi3ELi3ELi0EEEJNS0_11LerpFunctorIS8_EEEEEvT_T0_DpT1_: ; @_ZN2at6native12_GLOBAL__N_125multi_tensor_apply_kernelINS1_18TensorListMetadataILi3EEENS1_20TernaryOpListFunctorIN3c107complexIfEELi3ELi3ELi0EEEJNS0_11LerpFunctorIS8_EEEEEvT_T0_DpT1_
; %bb.0:
	v_mov_b32_e32 v1, s6
	global_load_ubyte v1, v1, s[4:5] offset:1536
	s_add_u32 s0, s4, s6
	s_mul_hi_u32 s1, s6, 3
	s_mul_i32 s6, s6, 3
	s_addc_u32 s2, s5, 0
	s_add_u32 s0, s0, s6
	s_addc_u32 s1, s2, s1
	s_load_dword s0, s[0:1], 0x740
	s_mov_b32 s13, 0
	s_mov_b32 s15, s13
	s_waitcnt lgkmcnt(0)
	s_ashr_i32 s1, s0, 31
	s_lshl_b64 s[8:9], s[0:1], 19
	s_waitcnt vmcnt(0)
	v_readfirstlane_b32 s2, v1
	s_lshl_b32 s10, s2, 3
	s_load_dwordx2 s[16:17], s[4:5], s10 offset:0x0
	s_load_dwordx2 s[6:7], s[4:5], s10 offset:0x180
	;; [unrolled: 1-line block ×4, first 2 shown]
	s_waitcnt lgkmcnt(0)
	s_add_u32 s22, s16, s8
	s_addc_u32 s23, s17, s9
	s_add_u32 s24, s6, s8
	s_addc_u32 s25, s7, s9
	;; [unrolled: 2-line block ×3, first 2 shown]
	s_or_b32 s10, s26, s24
	s_lshl_b64 s[0:1], s[0:1], 16
	s_and_b32 s12, s22, 31
	s_and_b32 s10, s10, 31
	s_cmp_lg_u32 s10, 0
	s_cselect_b64 s[20:21], -1, 0
	s_sub_u32 s10, s18, s0
	s_subb_u32 s11, s19, s1
	s_and_b32 s14, s18, 3
	s_or_b64 s[0:1], s[12:13], s[14:15]
	s_cmp_lg_u64 s[0:1], 0
	s_cselect_b64 s[0:1], -1, 0
	s_or_b64 s[0:1], s[20:21], s[0:1]
	s_andn2_b64 vcc, exec, s[0:1]
	s_mov_b64 s[0:1], -1
	s_cbranch_vccz .LBB9_21
; %bb.1:
	v_mov_b32_e32 v31, 0
	v_lshlrev_b32_e32 v30, 2, v0
	v_cmp_gt_i64_e32 vcc, s[10:11], v[30:31]
	s_and_saveexec_b64 s[14:15], vcc
	s_cbranch_execz .LBB9_20
; %bb.2:
	s_load_dword s0, s[4:5], 0xc5c
	v_lshlrev_b32_e32 v32, 5, v0
	s_mov_b64 s[18:19], 0
	s_mov_b32 s29, 0x3e800000
	s_mov_b64 s[20:21], 0xffff
	s_waitcnt lgkmcnt(0)
	s_and_b32 s0, s0, 0xffff
	v_add_lshl_u32 v30, v0, s0, 2
	s_lshl_b32 s12, s0, 2
	s_lshl_b32 s28, s0, 5
	s_branch .LBB9_4
.LBB9_3:                                ;   in Loop: Header=BB9_4 Depth=1
	s_or_b64 exec, exec, s[0:1]
	v_cmp_le_i64_e32 vcc, s[10:11], v[30:31]
	v_cmp_lt_u64_e64 s[0:1], s[20:21], v[30:31]
	s_or_b64 s[0:1], vcc, s[0:1]
	s_add_u32 s22, s22, s28
	s_addc_u32 s23, s23, 0
	s_add_u32 s26, s26, s28
	s_addc_u32 s27, s27, 0
	;; [unrolled: 2-line block ×3, first 2 shown]
	v_mov_b32_e32 v1, s13
	s_and_b64 s[0:1], exec, s[0:1]
	v_add_co_u32_e32 v30, vcc, s12, v30
	s_or_b64 s[18:19], s[0:1], s[18:19]
	v_addc_co_u32_e32 v31, vcc, v31, v1, vcc
	global_store_dwordx4 v[34:35], v[10:13], off
	global_store_dwordx4 v[34:35], v[18:21], off offset:16
	s_andn2_b64 exec, exec, s[18:19]
	s_cbranch_execz .LBB9_20
.LBB9_4:                                ; =>This Inner Loop Header: Depth=1
	v_mov_b32_e32 v1, s23
	v_add_co_u32_e32 v34, vcc, s22, v32
	v_addc_co_u32_e32 v35, vcc, 0, v1, vcc
	v_mov_b32_e32 v1, s25
	v_add_co_u32_e32 v10, vcc, s24, v32
	v_addc_co_u32_e32 v11, vcc, 0, v1, vcc
	;; [unrolled: 3-line block ×3, first 2 shown]
	global_load_dwordx4 v[2:5], v[12:13], off offset:16
	global_load_dwordx4 v[18:21], v[12:13], off
	global_load_dwordx4 v[6:9], v[34:35], off offset:16
	global_load_dwordx4 v[22:25], v[34:35], off
	global_load_dwordx4 v[26:29], v[10:11], off
	global_load_dwordx4 v[14:17], v[10:11], off offset:16
	s_waitcnt vmcnt(4)
	v_pk_mul_f32 v[10:11], v[18:19], v[18:19]
	v_add_f32_e32 v1, v10, v11
	v_cmp_ngt_f32_e32 vcc, s29, v1
	s_waitcnt vmcnt(1)
	v_pk_add_f32 v[12:13], v[26:27], v[22:23] neg_lo:[0,1] neg_hi:[0,1]
                                        ; implicit-def: $vgpr10_vgpr11
	s_and_saveexec_b64 s[0:1], vcc
	s_xor_b64 s[0:1], exec, s[0:1]
; %bb.5:                                ;   in Loop: Header=BB9_4 Depth=1
	v_sub_f32_e32 v36, 0, v19
	v_sub_f32_e32 v10, 1.0, v18
	v_pk_mul_f32 v[36:37], v[12:13], v[36:37] op_sel_hi:[1,0]
	v_pk_fma_f32 v[38:39], v[12:13], v[10:11], v[36:37] op_sel:[0,0,1] op_sel_hi:[1,1,0] neg_lo:[0,0,1] neg_hi:[0,0,1]
	v_pk_fma_f32 v[10:11], v[12:13], v[10:11], v[36:37] op_sel:[0,0,1] op_sel_hi:[1,0,0]
	v_mov_b32_e32 v39, v11
	v_pk_add_f32 v[10:11], v[26:27], v[38:39] neg_lo:[0,1] neg_hi:[0,1]
                                        ; implicit-def: $vgpr12_vgpr13
; %bb.6:                                ;   in Loop: Header=BB9_4 Depth=1
	s_andn2_saveexec_b64 s[0:1], s[0:1]
; %bb.7:                                ;   in Loop: Header=BB9_4 Depth=1
	v_pk_mul_f32 v[10:11], v[12:13], v[18:19] op_sel:[1,0]
	v_pk_fma_f32 v[26:27], v[12:13], v[18:19], v[10:11] op_sel:[0,0,1] op_sel_hi:[1,1,0] neg_lo:[0,0,1] neg_hi:[0,0,1]
	v_pk_fma_f32 v[10:11], v[12:13], v[18:19], v[10:11] op_sel:[0,0,1] op_sel_hi:[0,1,0]
	v_mov_b32_e32 v27, v11
	v_pk_add_f32 v[10:11], v[22:23], v[26:27]
; %bb.8:                                ;   in Loop: Header=BB9_4 Depth=1
	s_or_b64 exec, exec, s[0:1]
	v_pk_mul_f32 v[12:13], v[20:21], v[20:21]
	v_add_f32_e32 v1, v12, v13
	v_cmp_ngt_f32_e32 vcc, s29, v1
	v_pk_add_f32 v[18:19], v[28:29], v[24:25] neg_lo:[0,1] neg_hi:[0,1]
	s_and_saveexec_b64 s[0:1], vcc
	s_xor_b64 s[0:1], exec, s[0:1]
; %bb.9:                                ;   in Loop: Header=BB9_4 Depth=1
	v_sub_f32_e32 v12, 1.0, v20
	v_sub_f32_e32 v20, 0, v21
	v_pk_mul_f32 v[20:21], v[18:19], v[20:21] op_sel_hi:[1,0]
	v_pk_fma_f32 v[22:23], v[18:19], v[12:13], v[20:21] op_sel:[0,0,1] op_sel_hi:[1,1,0] neg_lo:[0,0,1] neg_hi:[0,0,1]
	v_pk_fma_f32 v[12:13], v[18:19], v[12:13], v[20:21] op_sel:[0,0,1] op_sel_hi:[1,0,0]
	v_mov_b32_e32 v23, v13
	v_pk_add_f32 v[12:13], v[28:29], v[22:23] neg_lo:[0,1] neg_hi:[0,1]
                                        ; implicit-def: $vgpr18_vgpr19
                                        ; implicit-def: $vgpr20_vgpr21
                                        ; implicit-def: $vgpr24_vgpr25
; %bb.10:                               ;   in Loop: Header=BB9_4 Depth=1
	s_andn2_saveexec_b64 s[0:1], s[0:1]
; %bb.11:                               ;   in Loop: Header=BB9_4 Depth=1
	v_pk_mul_f32 v[12:13], v[18:19], v[20:21] op_sel:[1,0]
	v_pk_fma_f32 v[22:23], v[18:19], v[20:21], v[12:13] op_sel:[0,0,1] op_sel_hi:[1,1,0] neg_lo:[0,0,1] neg_hi:[0,0,1]
	v_pk_fma_f32 v[12:13], v[18:19], v[20:21], v[12:13] op_sel:[0,0,1] op_sel_hi:[0,1,0]
	v_mov_b32_e32 v23, v13
	v_pk_add_f32 v[12:13], v[24:25], v[22:23]
; %bb.12:                               ;   in Loop: Header=BB9_4 Depth=1
	s_or_b64 exec, exec, s[0:1]
	v_pk_mul_f32 v[18:19], v[2:3], v[2:3]
	v_add_f32_e32 v1, v18, v19
	v_cmp_ngt_f32_e32 vcc, s29, v1
	s_waitcnt vmcnt(0)
	v_pk_add_f32 v[20:21], v[14:15], v[6:7] neg_lo:[0,1] neg_hi:[0,1]
                                        ; implicit-def: $vgpr18_vgpr19
	s_and_saveexec_b64 s[0:1], vcc
	s_xor_b64 s[0:1], exec, s[0:1]
; %bb.13:                               ;   in Loop: Header=BB9_4 Depth=1
	v_sub_f32_e32 v22, 0, v3
	v_sub_f32_e32 v18, 1.0, v2
	v_pk_mul_f32 v[22:23], v[20:21], v[22:23] op_sel_hi:[1,0]
	v_pk_fma_f32 v[24:25], v[20:21], v[18:19], v[22:23] op_sel:[0,0,1] op_sel_hi:[1,1,0] neg_lo:[0,0,1] neg_hi:[0,0,1]
	v_pk_fma_f32 v[18:19], v[20:21], v[18:19], v[22:23] op_sel:[0,0,1] op_sel_hi:[1,0,0]
	v_mov_b32_e32 v25, v19
	v_pk_add_f32 v[18:19], v[14:15], v[24:25] neg_lo:[0,1] neg_hi:[0,1]
                                        ; implicit-def: $vgpr20_vgpr21
; %bb.14:                               ;   in Loop: Header=BB9_4 Depth=1
	s_andn2_saveexec_b64 s[0:1], s[0:1]
; %bb.15:                               ;   in Loop: Header=BB9_4 Depth=1
	v_pk_mul_f32 v[14:15], v[20:21], v[2:3] op_sel:[1,0]
	v_pk_fma_f32 v[18:19], v[20:21], v[2:3], v[14:15] op_sel:[0,0,1] op_sel_hi:[1,1,0] neg_lo:[0,0,1] neg_hi:[0,0,1]
	v_pk_fma_f32 v[2:3], v[20:21], v[2:3], v[14:15] op_sel:[0,0,1] op_sel_hi:[0,1,0]
	v_mov_b32_e32 v19, v3
	v_pk_add_f32 v[18:19], v[6:7], v[18:19]
; %bb.16:                               ;   in Loop: Header=BB9_4 Depth=1
	s_or_b64 exec, exec, s[0:1]
	v_pk_mul_f32 v[2:3], v[4:5], v[4:5]
	v_add_f32_e32 v1, v2, v3
	v_cmp_ngt_f32_e32 vcc, s29, v1
	v_pk_add_f32 v[2:3], v[16:17], v[8:9] neg_lo:[0,1] neg_hi:[0,1]
	s_and_saveexec_b64 s[0:1], vcc
	s_xor_b64 s[0:1], exec, s[0:1]
; %bb.17:                               ;   in Loop: Header=BB9_4 Depth=1
	v_sub_f32_e32 v6, 0, v5
	v_sub_f32_e32 v4, 1.0, v4
	v_pk_mul_f32 v[6:7], v[2:3], v[6:7] op_sel_hi:[1,0]
	v_pk_fma_f32 v[8:9], v[2:3], v[4:5], v[6:7] op_sel:[0,0,1] op_sel_hi:[1,1,0] neg_lo:[0,0,1] neg_hi:[0,0,1]
	v_pk_fma_f32 v[2:3], v[2:3], v[4:5], v[6:7] op_sel:[0,0,1] op_sel_hi:[1,0,0]
	v_mov_b32_e32 v9, v3
	v_pk_add_f32 v[20:21], v[16:17], v[8:9] neg_lo:[0,1] neg_hi:[0,1]
                                        ; implicit-def: $vgpr2_vgpr3
                                        ; implicit-def: $vgpr4_vgpr5
                                        ; implicit-def: $vgpr8_vgpr9
; %bb.18:                               ;   in Loop: Header=BB9_4 Depth=1
	s_andn2_saveexec_b64 s[0:1], s[0:1]
	s_cbranch_execz .LBB9_3
; %bb.19:                               ;   in Loop: Header=BB9_4 Depth=1
	v_pk_mul_f32 v[6:7], v[2:3], v[4:5] op_sel:[1,0]
	v_pk_fma_f32 v[14:15], v[2:3], v[4:5], v[6:7] op_sel:[0,0,1] op_sel_hi:[1,1,0] neg_lo:[0,0,1] neg_hi:[0,0,1]
	v_pk_fma_f32 v[2:3], v[2:3], v[4:5], v[6:7] op_sel:[0,0,1] op_sel_hi:[0,1,0]
	v_mov_b32_e32 v15, v3
	v_pk_add_f32 v[20:21], v[8:9], v[14:15]
	s_branch .LBB9_3
.LBB9_20:
	s_or_b64 exec, exec, s[14:15]
	s_mov_b64 s[0:1], 0
.LBB9_21:
	s_andn2_b64 vcc, exec, s[0:1]
	s_cbranch_vccnz .LBB9_65
; %bb.22:
	v_cmp_lt_i64_e64 s[0:1], s[10:11], 1
	s_and_b64 vcc, exec, s[0:1]
	s_cbranch_vccnz .LBB9_65
; %bb.23:
	s_load_dword s0, s[4:5], 0xc5c
	v_mov_b32_e32 v2, 0x10000
	v_mov_b32_e32 v3, 0
	v_cmp_lt_u64_e32 vcc, s[10:11], v[2:3]
	v_lshlrev_b32_e32 v14, 3, v0
	s_waitcnt lgkmcnt(0)
	s_and_b32 s4, s0, 0xffff
	s_and_b64 s[0:1], vcc, exec
	v_mov_b32_e32 v19, s17
	v_add_co_u32_e32 v2, vcc, s16, v14
	v_addc_co_u32_e32 v1, vcc, 0, v19, vcc
	v_mov_b32_e32 v21, s7
	v_add_co_u32_e32 v4, vcc, s6, v14
	v_addc_co_u32_e32 v3, vcc, 0, v21, vcc
	v_mov_b32_e32 v15, 0
	v_mov_b32_e32 v23, s3
	v_add_co_u32_e32 v6, vcc, s2, v14
	v_addc_co_u32_e32 v5, vcc, 0, v23, vcc
	v_mad_u64_u32 v[12:13], s[0:1], s4, 24, v[14:15]
	v_add_co_u32_e32 v8, vcc, s16, v12
	v_addc_co_u32_e32 v7, vcc, v19, v13, vcc
	v_add_co_u32_e32 v10, vcc, s6, v12
	v_addc_co_u32_e32 v9, vcc, v21, v13, vcc
	v_add_co_u32_e32 v12, vcc, s2, v12
	s_mul_i32 s18, s4, 3
	v_addc_co_u32_e32 v11, vcc, v23, v13, vcc
	v_add_co_u32_e32 v25, vcc, s18, v0
	v_addc_co_u32_e64 v54, s[0:1], 0, 0, vcc
	s_cselect_b32 s15, s11, 0
	s_cselect_b32 s14, s10, 0x10000
	s_lshl_b32 s0, s4, 4
	v_add_co_u32_e32 v17, vcc, s0, v14
	v_addc_co_u32_e64 v20, s[0:1], 0, 0, vcc
	v_add_co_u32_e32 v14, vcc, s16, v17
	v_addc_co_u32_e32 v13, vcc, v19, v20, vcc
	v_add_co_u32_e32 v16, vcc, s6, v17
	v_addc_co_u32_e32 v15, vcc, v21, v20, vcc
	v_add_co_u32_e32 v18, vcc, s2, v17
	s_lshl_b32 s5, s4, 1
	v_addc_co_u32_e32 v17, vcc, v23, v20, vcc
	v_add_co_u32_e32 v55, vcc, s5, v0
	v_addc_co_u32_e64 v56, s[0:1], 0, 0, vcc
	v_add_co_u32_e32 v57, vcc, s4, v0
	v_lshlrev_b32_e32 v24, 3, v57
	v_addc_co_u32_e64 v58, s[0:1], 0, 0, vcc
	v_add_co_u32_e32 v20, vcc, s16, v24
	v_addc_co_u32_e32 v19, vcc, 0, v19, vcc
	v_add_co_u32_e32 v22, vcc, s6, v24
	v_addc_co_u32_e32 v21, vcc, 0, v21, vcc
	s_mov_b64 s[12:13], 0x3f800000
	v_add_co_u32_e32 v24, vcc, s2, v24
	s_lshl_b32 s20, s4, 2
	s_lshl_b32 s21, s4, 5
	s_mov_b32 s22, s13
	v_addc_co_u32_e32 v23, vcc, 0, v23, vcc
	s_mov_b64 s[16:17], 0
	s_mov_b32 s23, 0x3e800000
	s_branch .LBB9_25
.LBB9_24:                               ;   in Loop: Header=BB9_25 Depth=1
	s_or_b64 exec, exec, s[0:1]
	s_add_u32 s16, s16, s20
	s_addc_u32 s17, s17, 0
	v_pk_mov_b32 v[26:27], s[10:11], s[10:11] op_sel:[0,1]
	v_cmp_ge_i64_e32 vcc, s[16:17], v[26:27]
	v_mov_b32_e32 v26, 0xffff
	v_mov_b32_e32 v27, 0
	v_cmp_gt_u64_e64 s[0:1], s[16:17], v[26:27]
	s_or_b64 s[0:1], vcc, s[0:1]
	v_mov_b32_e32 v26, s22
	v_add_co_u32_e32 v2, vcc, s21, v2
	v_addc_co_u32_e32 v1, vcc, v1, v26, vcc
	v_add_co_u32_e32 v4, vcc, s21, v4
	v_addc_co_u32_e32 v3, vcc, v3, v26, vcc
	;; [unrolled: 2-line block ×12, first 2 shown]
	s_and_b64 vcc, exec, s[0:1]
	s_cbranch_vccnz .LBB9_65
.LBB9_25:                               ; =>This Inner Loop Header: Depth=1
	v_mov_b32_e32 v27, s17
	v_add_co_u32_e32 v26, vcc, s16, v0
	v_addc_co_u32_e32 v27, vcc, 0, v27, vcc
	v_cmp_gt_u64_e32 vcc, s[14:15], v[26:27]
	v_mov_b32_e32 v30, 0
	v_mov_b32_e32 v31, 0
	;; [unrolled: 1-line block ×4, first 2 shown]
	s_and_saveexec_b64 s[2:3], vcc
	s_cbranch_execz .LBB9_27
; %bb.26:                               ;   in Loop: Header=BB9_25 Depth=1
	v_mov_b32_e32 v29, s9
	v_add_co_u32_e64 v26, s[0:1], s8, v4
	v_addc_co_u32_e64 v27, s[0:1], v3, v29, s[0:1]
	v_add_co_u32_e64 v28, s[0:1], s8, v2
	v_addc_co_u32_e64 v29, s[0:1], v1, v29, s[0:1]
	global_load_dwordx2 v[30:31], v[28:29], off
	global_load_dwordx2 v[34:35], v[26:27], off
.LBB9_27:                               ;   in Loop: Header=BB9_25 Depth=1
	s_or_b64 exec, exec, s[2:3]
	v_mov_b32_e32 v26, 0
	v_mov_b32_e32 v38, 0
	v_mov_b32_e32 v39, 0
	s_and_saveexec_b64 s[2:3], vcc
	s_cbranch_execz .LBB9_29
; %bb.28:                               ;   in Loop: Header=BB9_25 Depth=1
	v_mov_b32_e32 v27, s9
	v_add_co_u32_e64 v28, s[0:1], s8, v6
	v_addc_co_u32_e64 v29, s[0:1], v5, v27, s[0:1]
	global_load_dwordx2 v[38:39], v[28:29], off
.LBB9_29:                               ;   in Loop: Header=BB9_25 Depth=1
	s_or_b64 exec, exec, s[2:3]
	v_mov_b32_e32 v27, s17
	v_add_co_u32_e64 v28, s[0:1], s16, v57
	v_addc_co_u32_e64 v29, s[0:1], v58, v27, s[0:1]
	v_cmp_gt_u64_e64 s[0:1], s[14:15], v[28:29]
	v_mov_b32_e32 v27, 0
	v_mov_b32_e32 v36, 0
	;; [unrolled: 1-line block ×3, first 2 shown]
	s_and_saveexec_b64 s[4:5], s[0:1]
	s_cbranch_execz .LBB9_31
; %bb.30:                               ;   in Loop: Header=BB9_25 Depth=1
	v_mov_b32_e32 v26, s9
	v_add_co_u32_e64 v28, s[2:3], s8, v22
	v_addc_co_u32_e64 v29, s[2:3], v21, v26, s[2:3]
	v_add_co_u32_e64 v32, s[2:3], s8, v20
	v_addc_co_u32_e64 v33, s[2:3], v19, v26, s[2:3]
	global_load_dwordx2 v[26:27], v[32:33], off
	global_load_dwordx2 v[36:37], v[28:29], off
.LBB9_31:                               ;   in Loop: Header=BB9_25 Depth=1
	s_or_b64 exec, exec, s[4:5]
	v_mov_b32_e32 v28, 0
	v_mov_b32_e32 v42, 0
	;; [unrolled: 1-line block ×3, first 2 shown]
	s_and_saveexec_b64 s[4:5], s[0:1]
	s_cbranch_execz .LBB9_33
; %bb.32:                               ;   in Loop: Header=BB9_25 Depth=1
	v_mov_b32_e32 v29, s9
	v_add_co_u32_e64 v32, s[2:3], s8, v24
	v_addc_co_u32_e64 v33, s[2:3], v23, v29, s[2:3]
	global_load_dwordx2 v[42:43], v[32:33], off
.LBB9_33:                               ;   in Loop: Header=BB9_25 Depth=1
	s_or_b64 exec, exec, s[4:5]
	v_mov_b32_e32 v29, s17
	v_add_co_u32_e64 v32, s[2:3], s16, v55
	v_addc_co_u32_e64 v33, s[2:3], v56, v29, s[2:3]
	v_cmp_gt_u64_e64 s[2:3], s[14:15], v[32:33]
	v_mov_b32_e32 v29, 0
	v_mov_b32_e32 v40, 0
	;; [unrolled: 1-line block ×3, first 2 shown]
	s_and_saveexec_b64 s[6:7], s[2:3]
	s_cbranch_execz .LBB9_35
; %bb.34:                               ;   in Loop: Header=BB9_25 Depth=1
	v_mov_b32_e32 v28, s9
	v_add_co_u32_e64 v32, s[4:5], s8, v16
	v_addc_co_u32_e64 v33, s[4:5], v15, v28, s[4:5]
	v_add_co_u32_e64 v44, s[4:5], s8, v14
	v_addc_co_u32_e64 v45, s[4:5], v13, v28, s[4:5]
	global_load_dwordx2 v[28:29], v[44:45], off
	global_load_dwordx2 v[40:41], v[32:33], off
.LBB9_35:                               ;   in Loop: Header=BB9_25 Depth=1
	s_or_b64 exec, exec, s[6:7]
	v_mov_b32_e32 v32, 0
	v_mov_b32_e32 v46, 0
	;; [unrolled: 1-line block ×3, first 2 shown]
	s_and_saveexec_b64 s[6:7], s[2:3]
	s_cbranch_execz .LBB9_37
; %bb.36:                               ;   in Loop: Header=BB9_25 Depth=1
	v_mov_b32_e32 v33, s9
	v_add_co_u32_e64 v44, s[4:5], s8, v18
	v_addc_co_u32_e64 v45, s[4:5], v17, v33, s[4:5]
	global_load_dwordx2 v[46:47], v[44:45], off
.LBB9_37:                               ;   in Loop: Header=BB9_25 Depth=1
	s_or_b64 exec, exec, s[6:7]
	v_mov_b32_e32 v33, s17
	v_add_co_u32_e64 v44, s[4:5], s16, v25
	v_addc_co_u32_e64 v45, s[4:5], v54, v33, s[4:5]
	v_cmp_gt_u64_e64 s[4:5], s[14:15], v[44:45]
	v_mov_b32_e32 v33, 0
	v_mov_b32_e32 v44, 0
	;; [unrolled: 1-line block ×3, first 2 shown]
	s_and_saveexec_b64 s[18:19], s[4:5]
	s_cbranch_execz .LBB9_39
; %bb.38:                               ;   in Loop: Header=BB9_25 Depth=1
	v_mov_b32_e32 v32, s9
	v_add_co_u32_e64 v48, s[6:7], s8, v10
	v_addc_co_u32_e64 v49, s[6:7], v9, v32, s[6:7]
	v_add_co_u32_e64 v50, s[6:7], s8, v8
	v_addc_co_u32_e64 v51, s[6:7], v7, v32, s[6:7]
	global_load_dwordx2 v[32:33], v[50:51], off
	global_load_dwordx2 v[44:45], v[48:49], off
.LBB9_39:                               ;   in Loop: Header=BB9_25 Depth=1
	s_or_b64 exec, exec, s[18:19]
	v_mov_b32_e32 v48, 0
	v_mov_b32_e32 v49, v48
	s_and_saveexec_b64 s[18:19], s[4:5]
	s_cbranch_execz .LBB9_41
; %bb.40:                               ;   in Loop: Header=BB9_25 Depth=1
	v_mov_b32_e32 v49, s9
	v_add_co_u32_e64 v48, s[6:7], s8, v12
	v_addc_co_u32_e64 v49, s[6:7], v11, v49, s[6:7]
	global_load_dwordx2 v[48:49], v[48:49], off
.LBB9_41:                               ;   in Loop: Header=BB9_25 Depth=1
	s_or_b64 exec, exec, s[18:19]
	s_waitcnt vmcnt(0)
	v_pk_mul_f32 v[50:51], v[38:39], v[38:39]
	v_add_f32_e32 v50, v51, v50
	v_cmp_ngt_f32_e64 s[6:7], s23, v50
	v_pk_add_f32 v[52:53], v[34:35], v[30:31] neg_lo:[0,1] neg_hi:[0,1]
                                        ; implicit-def: $vgpr50_vgpr51
	s_and_saveexec_b64 s[18:19], s[6:7]
	s_xor_b64 s[6:7], exec, s[18:19]
; %bb.42:                               ;   in Loop: Header=BB9_25 Depth=1
	v_pk_add_f32 v[30:31], v[38:39], s[12:13] neg_lo:[1,0] neg_hi:[1,0]
	v_pk_mul_f32 v[38:39], v[52:53], v[30:31] op_sel:[1,0]
	v_pk_fma_f32 v[50:51], v[52:53], v[30:31], v[38:39] op_sel:[0,0,1] op_sel_hi:[1,1,0] neg_lo:[0,0,1] neg_hi:[0,0,1]
	v_pk_fma_f32 v[30:31], v[52:53], v[30:31], v[38:39] op_sel:[0,0,1] op_sel_hi:[0,1,0]
	v_mov_b32_e32 v51, v31
	v_pk_add_f32 v[50:51], v[34:35], v[50:51] neg_lo:[0,1] neg_hi:[0,1]
                                        ; implicit-def: $vgpr52_vgpr53
                                        ; implicit-def: $vgpr38_vgpr39
                                        ; implicit-def: $vgpr30_vgpr31
; %bb.43:                               ;   in Loop: Header=BB9_25 Depth=1
	s_andn2_saveexec_b64 s[6:7], s[6:7]
; %bb.44:                               ;   in Loop: Header=BB9_25 Depth=1
	v_pk_mul_f32 v[34:35], v[52:53], v[38:39] op_sel:[1,0]
	v_pk_fma_f32 v[50:51], v[52:53], v[38:39], v[34:35] op_sel:[0,0,1] op_sel_hi:[1,1,0] neg_lo:[0,0,1] neg_hi:[0,0,1]
	v_pk_fma_f32 v[34:35], v[52:53], v[38:39], v[34:35] op_sel:[0,0,1] op_sel_hi:[0,1,0]
	v_mov_b32_e32 v51, v35
	v_pk_add_f32 v[50:51], v[30:31], v[50:51]
; %bb.45:                               ;   in Loop: Header=BB9_25 Depth=1
	s_or_b64 exec, exec, s[6:7]
	v_pk_mul_f32 v[30:31], v[42:43], v[42:43]
	v_add_f32_e32 v30, v31, v30
	v_cmp_ngt_f32_e64 s[6:7], s23, v30
	v_pk_add_f32 v[34:35], v[36:37], v[26:27] neg_lo:[0,1] neg_hi:[0,1]
                                        ; implicit-def: $vgpr30_vgpr31
	s_and_saveexec_b64 s[18:19], s[6:7]
	s_xor_b64 s[6:7], exec, s[18:19]
; %bb.46:                               ;   in Loop: Header=BB9_25 Depth=1
	v_pk_add_f32 v[26:27], v[42:43], s[12:13] neg_lo:[1,0] neg_hi:[1,0]
	v_pk_mul_f32 v[30:31], v[34:35], v[26:27] op_sel:[1,0]
	v_pk_fma_f32 v[38:39], v[34:35], v[26:27], v[30:31] op_sel:[0,0,1] op_sel_hi:[1,1,0] neg_lo:[0,0,1] neg_hi:[0,0,1]
	v_pk_fma_f32 v[26:27], v[34:35], v[26:27], v[30:31] op_sel:[0,0,1] op_sel_hi:[0,1,0]
	v_mov_b32_e32 v39, v27
	v_pk_add_f32 v[30:31], v[36:37], v[38:39] neg_lo:[0,1] neg_hi:[0,1]
                                        ; implicit-def: $vgpr34_vgpr35
                                        ; implicit-def: $vgpr42_vgpr43
                                        ; implicit-def: $vgpr26_vgpr27
; %bb.47:                               ;   in Loop: Header=BB9_25 Depth=1
	s_andn2_saveexec_b64 s[6:7], s[6:7]
; %bb.48:                               ;   in Loop: Header=BB9_25 Depth=1
	v_pk_mul_f32 v[30:31], v[34:35], v[42:43] op_sel:[1,0]
	v_pk_fma_f32 v[36:37], v[34:35], v[42:43], v[30:31] op_sel:[0,0,1] op_sel_hi:[1,1,0] neg_lo:[0,0,1] neg_hi:[0,0,1]
	v_pk_fma_f32 v[30:31], v[34:35], v[42:43], v[30:31] op_sel:[0,0,1] op_sel_hi:[0,1,0]
	v_mov_b32_e32 v37, v31
	v_pk_add_f32 v[30:31], v[26:27], v[36:37]
; %bb.49:                               ;   in Loop: Header=BB9_25 Depth=1
	s_or_b64 exec, exec, s[6:7]
	v_pk_mul_f32 v[26:27], v[46:47], v[46:47]
	v_add_f32_e32 v26, v27, v26
	v_cmp_ngt_f32_e64 s[6:7], s23, v26
	v_pk_add_f32 v[34:35], v[40:41], v[28:29] neg_lo:[0,1] neg_hi:[0,1]
                                        ; implicit-def: $vgpr26_vgpr27
	s_and_saveexec_b64 s[18:19], s[6:7]
	s_xor_b64 s[6:7], exec, s[18:19]
; %bb.50:                               ;   in Loop: Header=BB9_25 Depth=1
	v_pk_add_f32 v[26:27], v[46:47], s[12:13] neg_lo:[1,0] neg_hi:[1,0]
	v_pk_mul_f32 v[28:29], v[34:35], v[26:27] op_sel:[1,0]
	v_pk_fma_f32 v[36:37], v[34:35], v[26:27], v[28:29] op_sel:[0,0,1] op_sel_hi:[1,1,0] neg_lo:[0,0,1] neg_hi:[0,0,1]
	v_pk_fma_f32 v[26:27], v[34:35], v[26:27], v[28:29] op_sel:[0,0,1] op_sel_hi:[0,1,0]
	v_mov_b32_e32 v37, v27
	v_pk_add_f32 v[26:27], v[40:41], v[36:37] neg_lo:[0,1] neg_hi:[0,1]
                                        ; implicit-def: $vgpr34_vgpr35
                                        ; implicit-def: $vgpr46_vgpr47
                                        ; implicit-def: $vgpr28_vgpr29
; %bb.51:                               ;   in Loop: Header=BB9_25 Depth=1
	s_andn2_saveexec_b64 s[6:7], s[6:7]
; %bb.52:                               ;   in Loop: Header=BB9_25 Depth=1
	v_pk_mul_f32 v[26:27], v[34:35], v[46:47] op_sel:[1,0]
	v_pk_fma_f32 v[36:37], v[34:35], v[46:47], v[26:27] op_sel:[0,0,1] op_sel_hi:[1,1,0] neg_lo:[0,0,1] neg_hi:[0,0,1]
	v_pk_fma_f32 v[26:27], v[34:35], v[46:47], v[26:27] op_sel:[0,0,1] op_sel_hi:[0,1,0]
	v_mov_b32_e32 v37, v27
	v_pk_add_f32 v[26:27], v[28:29], v[36:37]
; %bb.53:                               ;   in Loop: Header=BB9_25 Depth=1
	s_or_b64 exec, exec, s[6:7]
	v_pk_mul_f32 v[28:29], v[48:49], v[48:49]
	v_add_f32_e32 v28, v29, v28
	v_cmp_ngt_f32_e64 s[6:7], s23, v28
	v_pk_add_f32 v[34:35], v[44:45], v[32:33] neg_lo:[0,1] neg_hi:[0,1]
                                        ; implicit-def: $vgpr28_vgpr29
	s_and_saveexec_b64 s[18:19], s[6:7]
	s_xor_b64 s[6:7], exec, s[18:19]
	s_cbranch_execnz .LBB9_59
; %bb.54:                               ;   in Loop: Header=BB9_25 Depth=1
	s_andn2_saveexec_b64 s[6:7], s[6:7]
	s_cbranch_execnz .LBB9_60
.LBB9_55:                               ;   in Loop: Header=BB9_25 Depth=1
	s_or_b64 exec, exec, s[6:7]
	s_and_saveexec_b64 s[6:7], vcc
	s_xor_b64 s[6:7], exec, s[6:7]
	s_cbranch_execnz .LBB9_61
.LBB9_56:                               ;   in Loop: Header=BB9_25 Depth=1
	s_or_b64 exec, exec, s[6:7]
	s_and_saveexec_b64 s[6:7], s[0:1]
	s_cbranch_execnz .LBB9_62
.LBB9_57:                               ;   in Loop: Header=BB9_25 Depth=1
	s_or_b64 exec, exec, s[6:7]
	s_and_saveexec_b64 s[0:1], s[2:3]
	s_cbranch_execnz .LBB9_63
.LBB9_58:                               ;   in Loop: Header=BB9_25 Depth=1
	s_or_b64 exec, exec, s[0:1]
	s_and_saveexec_b64 s[0:1], s[4:5]
	s_cbranch_execz .LBB9_24
	s_branch .LBB9_64
.LBB9_59:                               ;   in Loop: Header=BB9_25 Depth=1
	v_pk_add_f32 v[28:29], v[48:49], s[12:13] neg_lo:[1,0] neg_hi:[1,0]
	v_pk_mul_f32 v[32:33], v[34:35], v[28:29] op_sel:[1,0]
	v_pk_fma_f32 v[36:37], v[34:35], v[28:29], v[32:33] op_sel:[0,0,1] op_sel_hi:[1,1,0] neg_lo:[0,0,1] neg_hi:[0,0,1]
	v_pk_fma_f32 v[28:29], v[34:35], v[28:29], v[32:33] op_sel:[0,0,1] op_sel_hi:[0,1,0]
	v_mov_b32_e32 v37, v29
	v_pk_add_f32 v[28:29], v[44:45], v[36:37] neg_lo:[0,1] neg_hi:[0,1]
                                        ; implicit-def: $vgpr34_vgpr35
                                        ; implicit-def: $vgpr48_vgpr49
                                        ; implicit-def: $vgpr32_vgpr33
	s_andn2_saveexec_b64 s[6:7], s[6:7]
	s_cbranch_execz .LBB9_55
.LBB9_60:                               ;   in Loop: Header=BB9_25 Depth=1
	v_pk_mul_f32 v[28:29], v[34:35], v[48:49] op_sel:[1,0]
	v_pk_fma_f32 v[36:37], v[34:35], v[48:49], v[28:29] op_sel:[0,0,1] op_sel_hi:[1,1,0] neg_lo:[0,0,1] neg_hi:[0,0,1]
	v_pk_fma_f32 v[28:29], v[34:35], v[48:49], v[28:29] op_sel:[0,0,1] op_sel_hi:[0,1,0]
	v_mov_b32_e32 v37, v29
	v_pk_add_f32 v[28:29], v[32:33], v[36:37]
	s_or_b64 exec, exec, s[6:7]
	s_and_saveexec_b64 s[6:7], vcc
	s_xor_b64 s[6:7], exec, s[6:7]
	s_cbranch_execz .LBB9_56
.LBB9_61:                               ;   in Loop: Header=BB9_25 Depth=1
	v_mov_b32_e32 v33, s9
	v_add_co_u32_e32 v32, vcc, s8, v2
	v_addc_co_u32_e32 v33, vcc, v1, v33, vcc
	global_store_dwordx2 v[32:33], v[50:51], off
	s_or_b64 exec, exec, s[6:7]
	s_and_saveexec_b64 s[6:7], s[0:1]
	s_cbranch_execz .LBB9_57
.LBB9_62:                               ;   in Loop: Header=BB9_25 Depth=1
	v_mov_b32_e32 v33, s9
	v_add_co_u32_e32 v32, vcc, s8, v20
	v_addc_co_u32_e32 v33, vcc, v19, v33, vcc
	global_store_dwordx2 v[32:33], v[30:31], off
	s_or_b64 exec, exec, s[6:7]
	s_and_saveexec_b64 s[0:1], s[2:3]
	s_cbranch_execz .LBB9_58
.LBB9_63:                               ;   in Loop: Header=BB9_25 Depth=1
	v_mov_b32_e32 v31, s9
	v_add_co_u32_e32 v30, vcc, s8, v14
	v_addc_co_u32_e32 v31, vcc, v13, v31, vcc
	global_store_dwordx2 v[30:31], v[26:27], off
	s_or_b64 exec, exec, s[0:1]
	s_and_saveexec_b64 s[0:1], s[4:5]
	s_cbranch_execz .LBB9_24
.LBB9_64:                               ;   in Loop: Header=BB9_25 Depth=1
	v_mov_b32_e32 v27, s9
	v_add_co_u32_e32 v26, vcc, s8, v8
	v_addc_co_u32_e32 v27, vcc, v7, v27, vcc
	global_store_dwordx2 v[26:27], v[28:29], off
	s_branch .LBB9_24
.LBB9_65:
	s_endpgm
	.section	.rodata,"a",@progbits
	.p2align	6, 0x0
	.amdhsa_kernel _ZN2at6native12_GLOBAL__N_125multi_tensor_apply_kernelINS1_18TensorListMetadataILi3EEENS1_20TernaryOpListFunctorIN3c107complexIfEELi3ELi3ELi0EEEJNS0_11LerpFunctorIS8_EEEEEvT_T0_DpT1_
		.amdhsa_group_segment_fixed_size 0
		.amdhsa_private_segment_fixed_size 0
		.amdhsa_kernarg_size 3408
		.amdhsa_user_sgpr_count 6
		.amdhsa_user_sgpr_private_segment_buffer 1
		.amdhsa_user_sgpr_dispatch_ptr 0
		.amdhsa_user_sgpr_queue_ptr 0
		.amdhsa_user_sgpr_kernarg_segment_ptr 1
		.amdhsa_user_sgpr_dispatch_id 0
		.amdhsa_user_sgpr_flat_scratch_init 0
		.amdhsa_user_sgpr_kernarg_preload_length 0
		.amdhsa_user_sgpr_kernarg_preload_offset 0
		.amdhsa_user_sgpr_private_segment_size 0
		.amdhsa_uses_dynamic_stack 0
		.amdhsa_system_sgpr_private_segment_wavefront_offset 0
		.amdhsa_system_sgpr_workgroup_id_x 1
		.amdhsa_system_sgpr_workgroup_id_y 0
		.amdhsa_system_sgpr_workgroup_id_z 0
		.amdhsa_system_sgpr_workgroup_info 0
		.amdhsa_system_vgpr_workitem_id 0
		.amdhsa_next_free_vgpr 59
		.amdhsa_next_free_sgpr 30
		.amdhsa_accum_offset 60
		.amdhsa_reserve_vcc 1
		.amdhsa_reserve_flat_scratch 0
		.amdhsa_float_round_mode_32 0
		.amdhsa_float_round_mode_16_64 0
		.amdhsa_float_denorm_mode_32 3
		.amdhsa_float_denorm_mode_16_64 3
		.amdhsa_dx10_clamp 1
		.amdhsa_ieee_mode 1
		.amdhsa_fp16_overflow 0
		.amdhsa_tg_split 0
		.amdhsa_exception_fp_ieee_invalid_op 0
		.amdhsa_exception_fp_denorm_src 0
		.amdhsa_exception_fp_ieee_div_zero 0
		.amdhsa_exception_fp_ieee_overflow 0
		.amdhsa_exception_fp_ieee_underflow 0
		.amdhsa_exception_fp_ieee_inexact 0
		.amdhsa_exception_int_div_zero 0
	.end_amdhsa_kernel
	.section	.text._ZN2at6native12_GLOBAL__N_125multi_tensor_apply_kernelINS1_18TensorListMetadataILi3EEENS1_20TernaryOpListFunctorIN3c107complexIfEELi3ELi3ELi0EEEJNS0_11LerpFunctorIS8_EEEEEvT_T0_DpT1_,"axG",@progbits,_ZN2at6native12_GLOBAL__N_125multi_tensor_apply_kernelINS1_18TensorListMetadataILi3EEENS1_20TernaryOpListFunctorIN3c107complexIfEELi3ELi3ELi0EEEJNS0_11LerpFunctorIS8_EEEEEvT_T0_DpT1_,comdat
.Lfunc_end9:
	.size	_ZN2at6native12_GLOBAL__N_125multi_tensor_apply_kernelINS1_18TensorListMetadataILi3EEENS1_20TernaryOpListFunctorIN3c107complexIfEELi3ELi3ELi0EEEJNS0_11LerpFunctorIS8_EEEEEvT_T0_DpT1_, .Lfunc_end9-_ZN2at6native12_GLOBAL__N_125multi_tensor_apply_kernelINS1_18TensorListMetadataILi3EEENS1_20TernaryOpListFunctorIN3c107complexIfEELi3ELi3ELi0EEEJNS0_11LerpFunctorIS8_EEEEEvT_T0_DpT1_
                                        ; -- End function
	.section	.AMDGPU.csdata,"",@progbits
; Kernel info:
; codeLenInByte = 2736
; NumSgprs: 34
; NumVgprs: 59
; NumAgprs: 0
; TotalNumVgprs: 59
; ScratchSize: 0
; MemoryBound: 1
; FloatMode: 240
; IeeeMode: 1
; LDSByteSize: 0 bytes/workgroup (compile time only)
; SGPRBlocks: 4
; VGPRBlocks: 7
; NumSGPRsForWavesPerEU: 34
; NumVGPRsForWavesPerEU: 59
; AccumOffset: 60
; Occupancy: 8
; WaveLimiterHint : 0
; COMPUTE_PGM_RSRC2:SCRATCH_EN: 0
; COMPUTE_PGM_RSRC2:USER_SGPR: 6
; COMPUTE_PGM_RSRC2:TRAP_HANDLER: 0
; COMPUTE_PGM_RSRC2:TGID_X_EN: 1
; COMPUTE_PGM_RSRC2:TGID_Y_EN: 0
; COMPUTE_PGM_RSRC2:TGID_Z_EN: 0
; COMPUTE_PGM_RSRC2:TIDIG_COMP_CNT: 0
; COMPUTE_PGM_RSRC3_GFX90A:ACCUM_OFFSET: 14
; COMPUTE_PGM_RSRC3_GFX90A:TG_SPLIT: 0
	.section	.text._ZN2at6native12_GLOBAL__N_125multi_tensor_apply_kernelINS1_18TensorListMetadataILi3EEENS1_20TernaryOpListFunctorIN3c104HalfELi3ELi3ELi0EEEJNS0_11LerpFunctorIfEEEEEvT_T0_DpT1_,"axG",@progbits,_ZN2at6native12_GLOBAL__N_125multi_tensor_apply_kernelINS1_18TensorListMetadataILi3EEENS1_20TernaryOpListFunctorIN3c104HalfELi3ELi3ELi0EEEJNS0_11LerpFunctorIfEEEEEvT_T0_DpT1_,comdat
	.globl	_ZN2at6native12_GLOBAL__N_125multi_tensor_apply_kernelINS1_18TensorListMetadataILi3EEENS1_20TernaryOpListFunctorIN3c104HalfELi3ELi3ELi0EEEJNS0_11LerpFunctorIfEEEEEvT_T0_DpT1_ ; -- Begin function _ZN2at6native12_GLOBAL__N_125multi_tensor_apply_kernelINS1_18TensorListMetadataILi3EEENS1_20TernaryOpListFunctorIN3c104HalfELi3ELi3ELi0EEEJNS0_11LerpFunctorIfEEEEEvT_T0_DpT1_
	.p2align	8
	.type	_ZN2at6native12_GLOBAL__N_125multi_tensor_apply_kernelINS1_18TensorListMetadataILi3EEENS1_20TernaryOpListFunctorIN3c104HalfELi3ELi3ELi0EEEJNS0_11LerpFunctorIfEEEEEvT_T0_DpT1_,@function
_ZN2at6native12_GLOBAL__N_125multi_tensor_apply_kernelINS1_18TensorListMetadataILi3EEENS1_20TernaryOpListFunctorIN3c104HalfELi3ELi3ELi0EEEJNS0_11LerpFunctorIfEEEEEvT_T0_DpT1_: ; @_ZN2at6native12_GLOBAL__N_125multi_tensor_apply_kernelINS1_18TensorListMetadataILi3EEENS1_20TernaryOpListFunctorIN3c104HalfELi3ELi3ELi0EEEJNS0_11LerpFunctorIfEEEEEvT_T0_DpT1_
; %bb.0:
	v_mov_b32_e32 v1, s6
	global_load_ubyte v1, v1, s[4:5] offset:1536
	s_add_u32 s0, s4, s6
	s_mul_hi_u32 s2, s6, 3
	s_mul_i32 s6, s6, 3
	s_addc_u32 s7, s5, 0
	s_add_u32 s6, s0, s6
	s_addc_u32 s7, s7, s2
	s_load_dword s6, s[6:7], 0x740
	s_mov_b32 s1, 0
	s_mov_b32 s3, s1
	s_waitcnt lgkmcnt(0)
	s_ashr_i32 s7, s6, 31
	s_lshl_b64 s[8:9], s[6:7], 17
	s_waitcnt vmcnt(0)
	v_readfirstlane_b32 s0, v1
	s_lshl_b32 s0, s0, 3
	s_load_dwordx2 s[18:19], s[4:5], s0 offset:0x0
	s_load_dwordx2 s[16:17], s[4:5], s0 offset:0x180
	;; [unrolled: 1-line block ×4, first 2 shown]
	s_waitcnt lgkmcnt(0)
	s_and_b32 s0, s18, 7
	s_add_u32 s2, s16, s8
	s_or_b32 s2, s14, s2
	s_and_b32 s2, s2, 7
	s_cmp_lg_u32 s2, 0
	s_cselect_b64 s[20:21], -1, 0
	s_lshl_b64 s[6:7], s[6:7], 16
	s_sub_u32 s10, s12, s6
	s_subb_u32 s11, s13, s7
	s_and_b32 s2, s12, 3
	s_or_b64 s[2:3], s[0:1], s[2:3]
	s_cmp_lg_u64 s[2:3], 0
	s_cselect_b64 s[2:3], -1, 0
	s_or_b64 s[2:3], s[20:21], s[2:3]
	s_andn2_b64 vcc, exec, s[2:3]
	s_mov_b64 s[2:3], -1
	s_cbranch_vccz .LBB10_5
; %bb.1:
	v_mov_b32_e32 v3, 0
	v_lshlrev_b32_e32 v2, 2, v0
	v_cmp_gt_i64_e32 vcc, s[10:11], v[2:3]
	s_and_saveexec_b64 s[12:13], vcc
	s_cbranch_execz .LBB10_4
; %bb.2:
	s_load_dword s0, s[4:5], 0xc5c
	v_lshlrev_b32_e32 v1, 3, v0
	v_mov_b32_e32 v2, s9
	v_add_co_u32_e32 v4, vcc, s8, v1
	s_waitcnt lgkmcnt(0)
	s_and_b32 s0, s0, 0xffff
	v_addc_co_u32_e32 v1, vcc, 0, v2, vcc
	s_lshl_b32 s24, s0, 3
	v_add_lshl_u32 v2, v0, s0, 2
	s_lshl_b32 s25, s0, 2
	s_mov_b64 s[20:21], 0
	v_mov_b32_e32 v5, s19
	v_mov_b32_e32 v6, s17
	;; [unrolled: 1-line block ×3, first 2 shown]
	s_mov_b64 s[22:23], 0xffff
	v_mov_b32_e32 v8, s1
	v_mov_b32_e32 v9, s1
.LBB10_3:                               ; =>This Inner Loop Header: Depth=1
	v_add_co_u32_e32 v10, vcc, s18, v4
	v_addc_co_u32_e32 v11, vcc, v5, v1, vcc
	v_add_co_u32_e32 v12, vcc, s16, v4
	v_addc_co_u32_e32 v13, vcc, v6, v1, vcc
	;; [unrolled: 2-line block ×3, first 2 shown]
	global_load_dwordx2 v[16:17], v[10:11], off
	global_load_dwordx2 v[18:19], v[12:13], off
	;; [unrolled: 1-line block ×3, first 2 shown]
	v_add_co_u32_e64 v4, s[2:3], s24, v4
	v_addc_co_u32_e64 v1, s[2:3], v1, v8, s[2:3]
	v_cmp_le_i64_e32 vcc, s[10:11], v[2:3]
	v_cmp_lt_u64_e64 s[0:1], s[22:23], v[2:3]
	v_add_co_u32_e64 v2, s[2:3], s25, v2
	v_addc_co_u32_e64 v3, s[2:3], v3, v9, s[2:3]
	s_or_b64 s[26:27], vcc, s[0:1]
	s_waitcnt vmcnt(2)
	v_cvt_f32_f16_sdwa v13, v17 dst_sel:DWORD dst_unused:UNUSED_PAD src0_sel:WORD_1
	v_cvt_f32_f16_e32 v12, v17
	v_cvt_f32_f16_sdwa v15, v16 dst_sel:DWORD dst_unused:UNUSED_PAD src0_sel:WORD_1
	v_cvt_f32_f16_e32 v14, v16
	s_waitcnt vmcnt(1)
	v_cvt_f32_f16_sdwa v17, v19 dst_sel:DWORD dst_unused:UNUSED_PAD src0_sel:WORD_1
	v_cvt_f32_f16_e32 v16, v19
	v_cvt_f32_f16_sdwa v19, v18 dst_sel:DWORD dst_unused:UNUSED_PAD src0_sel:WORD_1
	v_cvt_f32_f16_e32 v18, v18
	s_waitcnt vmcnt(0)
	v_cvt_f32_f16_e32 v22, v20
	v_cvt_f32_f16_sdwa v23, v20 dst_sel:DWORD dst_unused:UNUSED_PAD src0_sel:WORD_1
	v_cvt_f32_f16_e32 v20, v21
	v_cvt_f32_f16_sdwa v21, v21 dst_sel:DWORD dst_unused:UNUSED_PAD src0_sel:WORD_1
	v_sub_f32_e32 v24, v18, v14
	v_sub_f32_e32 v25, v19, v15
	;; [unrolled: 1-line block ×4, first 2 shown]
	v_sub_f32_e32 v28, 1.0, v22
	v_sub_f32_e32 v29, 1.0, v23
	;; [unrolled: 1-line block ×4, first 2 shown]
	v_pk_fma_f32 v[12:13], v[26:27], v[20:21], v[12:13]
	v_pk_fma_f32 v[14:15], v[24:25], v[22:23], v[14:15]
	v_xor_b32_e32 v26, 0x80000000, v26
	v_xor_b32_e32 v27, 0x80000000, v27
	;; [unrolled: 1-line block ×4, first 2 shown]
	v_pk_fma_f32 v[16:17], v[26:27], v[30:31], v[16:17]
	v_cmp_lt_f32_e64 vcc, |v21|, 0.5
	v_cmp_lt_f32_e64 s[0:1], |v20|, 0.5
	v_pk_fma_f32 v[18:19], v[24:25], v[28:29], v[18:19]
	v_cmp_lt_f32_e64 s[2:3], |v23|, 0.5
	v_cmp_lt_f32_e64 s[6:7], |v22|, 0.5
	v_cndmask_b32_e64 v14, v18, v14, s[6:7]
	v_cndmask_b32_e64 v15, v19, v15, s[2:3]
	;; [unrolled: 1-line block ×3, first 2 shown]
	v_cndmask_b32_e32 v13, v17, v13, vcc
	v_cvt_f16_f32_e32 v13, v13
	v_cvt_f16_f32_e32 v12, v12
	v_cvt_f16_f32_e32 v15, v15
	v_cvt_f16_f32_e32 v14, v14
	s_and_b64 s[0:1], exec, s[26:27]
	s_or_b64 s[20:21], s[0:1], s[20:21]
	v_pack_b32_f16 v13, v12, v13
	v_pack_b32_f16 v12, v14, v15
	global_store_dwordx2 v[10:11], v[12:13], off
	s_andn2_b64 exec, exec, s[20:21]
	s_cbranch_execnz .LBB10_3
.LBB10_4:
	s_or_b64 exec, exec, s[12:13]
	s_mov_b64 s[2:3], 0
.LBB10_5:
	s_andn2_b64 vcc, exec, s[2:3]
	s_cbranch_vccnz .LBB10_33
; %bb.6:
	v_cmp_lt_i64_e64 s[0:1], s[10:11], 1
	s_and_b64 vcc, exec, s[0:1]
	s_cbranch_vccnz .LBB10_33
; %bb.7:
	s_load_dword s0, s[4:5], 0xc5c
	v_mov_b32_e32 v2, 0x10000
	v_mov_b32_e32 v3, 0
	v_cmp_lt_u64_e32 vcc, s[10:11], v[2:3]
	v_lshlrev_b32_e32 v14, 1, v0
	s_waitcnt lgkmcnt(0)
	s_and_b32 s2, s0, 0xffff
	s_and_b64 s[0:1], vcc, exec
	v_mov_b32_e32 v19, s19
	v_add_co_u32_e32 v2, vcc, s18, v14
	v_addc_co_u32_e32 v1, vcc, 0, v19, vcc
	v_mov_b32_e32 v21, s17
	v_add_co_u32_e32 v4, vcc, s16, v14
	v_addc_co_u32_e32 v3, vcc, 0, v21, vcc
	v_mov_b32_e32 v15, 0
	v_mov_b32_e32 v23, s15
	v_add_co_u32_e32 v6, vcc, s14, v14
	v_addc_co_u32_e32 v5, vcc, 0, v23, vcc
	v_mad_u64_u32 v[12:13], s[0:1], s2, 6, v[14:15]
	v_add_co_u32_e32 v8, vcc, s18, v12
	v_addc_co_u32_e32 v7, vcc, v19, v13, vcc
	v_add_co_u32_e32 v10, vcc, s16, v12
	v_addc_co_u32_e32 v9, vcc, v21, v13, vcc
	v_add_co_u32_e32 v12, vcc, s14, v12
	s_mul_i32 s4, s2, 3
	v_addc_co_u32_e32 v11, vcc, v23, v13, vcc
	s_cselect_b32 s13, s11, 0
	s_cselect_b32 s12, s10, 0x10000
	s_lshl_b32 s21, s2, 2
	v_add_co_u32_e32 v25, vcc, s4, v0
	v_addc_co_u32_e64 v26, s[0:1], 0, 0, vcc
	v_add_co_u32_e32 v17, vcc, s21, v14
	v_addc_co_u32_e64 v20, s[0:1], 0, 0, vcc
	v_add_co_u32_e32 v14, vcc, s18, v17
	v_addc_co_u32_e32 v13, vcc, v19, v20, vcc
	v_add_co_u32_e32 v16, vcc, s16, v17
	v_addc_co_u32_e32 v15, vcc, v21, v20, vcc
	v_add_co_u32_e32 v18, vcc, s14, v17
	s_lshl_b32 s3, s2, 1
	v_addc_co_u32_e32 v17, vcc, v23, v20, vcc
	v_add_co_u32_e32 v27, vcc, s3, v0
	v_addc_co_u32_e64 v28, s[0:1], 0, 0, vcc
	v_add_co_u32_e32 v29, vcc, s2, v0
	v_lshlrev_b32_e32 v24, 1, v29
	v_addc_co_u32_e64 v30, s[0:1], 0, 0, vcc
	v_add_co_u32_e32 v20, vcc, s18, v24
	v_addc_co_u32_e32 v19, vcc, 0, v19, vcc
	v_add_co_u32_e32 v22, vcc, s16, v24
	v_addc_co_u32_e32 v21, vcc, 0, v21, vcc
	v_add_co_u32_e32 v24, vcc, s14, v24
	s_mov_b32 s20, 0
	s_lshl_b32 s19, s2, 3
	v_addc_co_u32_e32 v23, vcc, 0, v23, vcc
	s_mov_b64 s[14:15], 0
	s_branch .LBB10_9
.LBB10_8:                               ;   in Loop: Header=BB10_9 Depth=1
	s_or_b64 exec, exec, s[0:1]
	s_add_u32 s14, s14, s21
	s_addc_u32 s15, s15, 0
	s_waitcnt vmcnt(0)
	v_pk_mov_b32 v[32:33], s[10:11], s[10:11] op_sel:[0,1]
	v_cmp_ge_i64_e32 vcc, s[14:15], v[32:33]
	v_mov_b32_e32 v32, 0xffff
	v_mov_b32_e32 v33, 0
	v_cmp_gt_u64_e64 s[0:1], s[14:15], v[32:33]
	s_or_b64 s[0:1], vcc, s[0:1]
	v_mov_b32_e32 v31, s20
	v_add_co_u32_e32 v2, vcc, s19, v2
	v_addc_co_u32_e32 v1, vcc, v1, v31, vcc
	v_add_co_u32_e32 v4, vcc, s19, v4
	v_addc_co_u32_e32 v3, vcc, v3, v31, vcc
	;; [unrolled: 2-line block ×12, first 2 shown]
	s_and_b64 vcc, exec, s[0:1]
	s_cbranch_vccnz .LBB10_33
.LBB10_9:                               ; =>This Inner Loop Header: Depth=1
	v_mov_b32_e32 v31, s15
	v_add_co_u32_e32 v32, vcc, s14, v0
	v_addc_co_u32_e32 v33, vcc, 0, v31, vcc
	v_cmp_gt_u64_e32 vcc, s[12:13], v[32:33]
	v_mov_b32_e32 v31, 0
	v_mov_b32_e32 v32, 0
	s_and_saveexec_b64 s[2:3], vcc
	s_cbranch_execz .LBB10_11
; %bb.10:                               ;   in Loop: Header=BB10_9 Depth=1
	v_mov_b32_e32 v31, s9
	v_add_co_u32_e64 v34, s[0:1], s8, v4
	v_addc_co_u32_e64 v35, s[0:1], v3, v31, s[0:1]
	v_add_co_u32_e64 v36, s[0:1], s8, v2
	v_addc_co_u32_e64 v37, s[0:1], v1, v31, s[0:1]
	global_load_ushort v31, v[36:37], off
	global_load_ushort v32, v[34:35], off
.LBB10_11:                              ;   in Loop: Header=BB10_9 Depth=1
	s_or_b64 exec, exec, s[2:3]
	v_mov_b32_e32 v33, 0
	v_mov_b32_e32 v34, 0
	s_and_saveexec_b64 s[2:3], vcc
	s_cbranch_execz .LBB10_13
; %bb.12:                               ;   in Loop: Header=BB10_9 Depth=1
	v_mov_b32_e32 v35, s9
	v_add_co_u32_e64 v34, s[0:1], s8, v6
	v_addc_co_u32_e64 v35, s[0:1], v5, v35, s[0:1]
	global_load_ushort v34, v[34:35], off
.LBB10_13:                              ;   in Loop: Header=BB10_9 Depth=1
	s_or_b64 exec, exec, s[2:3]
	v_mov_b32_e32 v35, s15
	v_add_co_u32_e64 v36, s[0:1], s14, v29
	v_addc_co_u32_e64 v37, s[0:1], v30, v35, s[0:1]
	v_cmp_gt_u64_e64 s[0:1], s[12:13], v[36:37]
	v_mov_b32_e32 v35, 0
	s_and_saveexec_b64 s[4:5], s[0:1]
	s_cbranch_execz .LBB10_15
; %bb.14:                               ;   in Loop: Header=BB10_9 Depth=1
	v_mov_b32_e32 v33, s9
	v_add_co_u32_e64 v36, s[2:3], s8, v22
	v_addc_co_u32_e64 v37, s[2:3], v21, v33, s[2:3]
	v_add_co_u32_e64 v38, s[2:3], s8, v20
	v_addc_co_u32_e64 v39, s[2:3], v19, v33, s[2:3]
	global_load_ushort v33, v[38:39], off
	global_load_ushort v35, v[36:37], off
.LBB10_15:                              ;   in Loop: Header=BB10_9 Depth=1
	s_or_b64 exec, exec, s[4:5]
	v_mov_b32_e32 v36, 0
	v_mov_b32_e32 v37, 0
	s_and_saveexec_b64 s[4:5], s[0:1]
	s_cbranch_execz .LBB10_17
; %bb.16:                               ;   in Loop: Header=BB10_9 Depth=1
	v_mov_b32_e32 v37, s9
	v_add_co_u32_e64 v38, s[2:3], s8, v24
	v_addc_co_u32_e64 v39, s[2:3], v23, v37, s[2:3]
	global_load_ushort v37, v[38:39], off
.LBB10_17:                              ;   in Loop: Header=BB10_9 Depth=1
	s_or_b64 exec, exec, s[4:5]
	v_mov_b32_e32 v39, s15
	v_add_co_u32_e64 v38, s[2:3], s14, v27
	v_addc_co_u32_e64 v39, s[2:3], v28, v39, s[2:3]
	v_cmp_gt_u64_e64 s[2:3], s[12:13], v[38:39]
	v_mov_b32_e32 v38, 0
	s_and_saveexec_b64 s[6:7], s[2:3]
	s_cbranch_execz .LBB10_19
; %bb.18:                               ;   in Loop: Header=BB10_9 Depth=1
	v_mov_b32_e32 v36, s9
	v_add_co_u32_e64 v40, s[4:5], s8, v16
	v_addc_co_u32_e64 v41, s[4:5], v15, v36, s[4:5]
	v_add_co_u32_e64 v42, s[4:5], s8, v14
	v_addc_co_u32_e64 v43, s[4:5], v13, v36, s[4:5]
	global_load_ushort v36, v[42:43], off
	global_load_ushort v38, v[40:41], off
.LBB10_19:                              ;   in Loop: Header=BB10_9 Depth=1
	s_or_b64 exec, exec, s[6:7]
	v_mov_b32_e32 v39, 0
	v_mov_b32_e32 v40, 0
	s_and_saveexec_b64 s[6:7], s[2:3]
	s_cbranch_execz .LBB10_21
; %bb.20:                               ;   in Loop: Header=BB10_9 Depth=1
	v_mov_b32_e32 v41, s9
	v_add_co_u32_e64 v40, s[4:5], s8, v18
	v_addc_co_u32_e64 v41, s[4:5], v17, v41, s[4:5]
	global_load_ushort v40, v[40:41], off
.LBB10_21:                              ;   in Loop: Header=BB10_9 Depth=1
	s_or_b64 exec, exec, s[6:7]
	v_mov_b32_e32 v41, s15
	v_add_co_u32_e64 v42, s[4:5], s14, v25
	v_addc_co_u32_e64 v43, s[4:5], v26, v41, s[4:5]
	v_cmp_gt_u64_e64 s[4:5], s[12:13], v[42:43]
	v_mov_b32_e32 v41, 0
	s_and_saveexec_b64 s[16:17], s[4:5]
	s_cbranch_execnz .LBB10_27
; %bb.22:                               ;   in Loop: Header=BB10_9 Depth=1
	s_or_b64 exec, exec, s[16:17]
	v_mov_b32_e32 v42, 0
	s_and_saveexec_b64 s[16:17], s[4:5]
	s_cbranch_execnz .LBB10_28
.LBB10_23:                              ;   in Loop: Header=BB10_9 Depth=1
	s_or_b64 exec, exec, s[16:17]
	s_and_saveexec_b64 s[6:7], vcc
	s_cbranch_execnz .LBB10_29
.LBB10_24:                              ;   in Loop: Header=BB10_9 Depth=1
	s_or_b64 exec, exec, s[6:7]
	s_and_saveexec_b64 s[6:7], s[0:1]
	s_cbranch_execnz .LBB10_30
.LBB10_25:                              ;   in Loop: Header=BB10_9 Depth=1
	s_or_b64 exec, exec, s[6:7]
	s_and_saveexec_b64 s[0:1], s[2:3]
	s_cbranch_execnz .LBB10_31
.LBB10_26:                              ;   in Loop: Header=BB10_9 Depth=1
	s_or_b64 exec, exec, s[0:1]
	s_and_saveexec_b64 s[0:1], s[4:5]
	s_cbranch_execz .LBB10_8
	s_branch .LBB10_32
.LBB10_27:                              ;   in Loop: Header=BB10_9 Depth=1
	v_mov_b32_e32 v39, s9
	v_add_co_u32_e64 v42, s[6:7], s8, v10
	v_addc_co_u32_e64 v43, s[6:7], v9, v39, s[6:7]
	v_add_co_u32_e64 v44, s[6:7], s8, v8
	v_addc_co_u32_e64 v45, s[6:7], v7, v39, s[6:7]
	global_load_ushort v39, v[44:45], off
	global_load_ushort v41, v[42:43], off
	s_or_b64 exec, exec, s[16:17]
	v_mov_b32_e32 v42, 0
	s_and_saveexec_b64 s[16:17], s[4:5]
	s_cbranch_execz .LBB10_23
.LBB10_28:                              ;   in Loop: Header=BB10_9 Depth=1
	v_mov_b32_e32 v43, s9
	v_add_co_u32_e64 v42, s[6:7], s8, v12
	v_addc_co_u32_e64 v43, s[6:7], v11, v43, s[6:7]
	global_load_ushort v42, v[42:43], off
	s_or_b64 exec, exec, s[16:17]
	s_and_saveexec_b64 s[6:7], vcc
	s_cbranch_execz .LBB10_24
.LBB10_29:                              ;   in Loop: Header=BB10_9 Depth=1
	s_waitcnt vmcnt(0)
	v_cvt_f32_f16_e32 v43, v32
	v_cvt_f32_f16_e32 v44, v31
	;; [unrolled: 1-line block ×3, first 2 shown]
	v_sub_f32_e32 v43, v43, v44
	v_sub_f32_e32 v44, 1.0, v45
	v_fma_mix_f32 v31, v43, v34, v31 op_sel_hi:[0,1,1]
	v_fma_mix_f32 v32, -v43, v44, v32 op_sel_hi:[0,0,1]
	v_cmp_lt_f32_e64 vcc, |v45|, 0.5
	v_cndmask_b32_e32 v31, v32, v31, vcc
	v_cvt_f16_f32_e32 v31, v31
	v_mov_b32_e32 v32, s9
	v_add_co_u32_e32 v44, vcc, s8, v2
	v_addc_co_u32_e32 v45, vcc, v1, v32, vcc
	global_store_short v[44:45], v31, off
	s_or_b64 exec, exec, s[6:7]
	s_and_saveexec_b64 s[6:7], s[0:1]
	s_cbranch_execz .LBB10_25
.LBB10_30:                              ;   in Loop: Header=BB10_9 Depth=1
	s_waitcnt vmcnt(1)
	v_cvt_f32_f16_e32 v31, v33
	s_waitcnt vmcnt(0)
	v_cvt_f32_f16_e32 v32, v35
	v_cvt_f32_f16_e32 v34, v37
	v_sub_f32_e32 v31, v32, v31
	v_sub_f32_e32 v32, 1.0, v34
	v_fma_mix_f32 v33, v31, v37, v33 op_sel_hi:[0,1,1]
	v_fma_mix_f32 v31, -v31, v32, v35 op_sel_hi:[0,0,1]
	v_cmp_lt_f32_e64 vcc, |v34|, 0.5
	v_cndmask_b32_e32 v31, v31, v33, vcc
	v_cvt_f16_f32_e32 v31, v31
	v_mov_b32_e32 v33, s9
	v_add_co_u32_e32 v32, vcc, s8, v20
	v_addc_co_u32_e32 v33, vcc, v19, v33, vcc
	global_store_short v[32:33], v31, off
	s_or_b64 exec, exec, s[6:7]
	s_and_saveexec_b64 s[0:1], s[2:3]
	s_cbranch_execz .LBB10_26
.LBB10_31:                              ;   in Loop: Header=BB10_9 Depth=1
	s_waitcnt vmcnt(1)
	v_cvt_f32_f16_e32 v31, v36
	s_waitcnt vmcnt(0)
	v_cvt_f32_f16_e32 v32, v38
	v_cvt_f32_f16_e32 v33, v40
	v_sub_f32_e32 v31, v32, v31
	v_sub_f32_e32 v32, 1.0, v33
	v_fma_mix_f32 v34, v31, v40, v36 op_sel_hi:[0,1,1]
	v_fma_mix_f32 v31, -v31, v32, v38 op_sel_hi:[0,0,1]
	v_cmp_lt_f32_e64 vcc, |v33|, 0.5
	v_cndmask_b32_e32 v31, v31, v34, vcc
	v_cvt_f16_f32_e32 v31, v31
	v_mov_b32_e32 v33, s9
	v_add_co_u32_e32 v32, vcc, s8, v14
	v_addc_co_u32_e32 v33, vcc, v13, v33, vcc
	global_store_short v[32:33], v31, off
	s_or_b64 exec, exec, s[0:1]
	s_and_saveexec_b64 s[0:1], s[4:5]
	s_cbranch_execz .LBB10_8
.LBB10_32:                              ;   in Loop: Header=BB10_9 Depth=1
	s_waitcnt vmcnt(1)
	v_cvt_f32_f16_e32 v31, v39
	s_waitcnt vmcnt(0)
	v_cvt_f32_f16_e32 v32, v41
	v_cvt_f32_f16_e32 v33, v42
	v_sub_f32_e32 v31, v32, v31
	v_sub_f32_e32 v32, 1.0, v33
	v_fma_mix_f32 v34, v31, v42, v39 op_sel_hi:[0,1,1]
	v_fma_mix_f32 v31, -v31, v32, v41 op_sel_hi:[0,0,1]
	v_cmp_lt_f32_e64 vcc, |v33|, 0.5
	v_cndmask_b32_e32 v31, v31, v34, vcc
	v_cvt_f16_f32_e32 v31, v31
	v_mov_b32_e32 v33, s9
	v_add_co_u32_e32 v32, vcc, s8, v8
	v_addc_co_u32_e32 v33, vcc, v7, v33, vcc
	global_store_short v[32:33], v31, off
	s_branch .LBB10_8
.LBB10_33:
	s_endpgm
	.section	.rodata,"a",@progbits
	.p2align	6, 0x0
	.amdhsa_kernel _ZN2at6native12_GLOBAL__N_125multi_tensor_apply_kernelINS1_18TensorListMetadataILi3EEENS1_20TernaryOpListFunctorIN3c104HalfELi3ELi3ELi0EEEJNS0_11LerpFunctorIfEEEEEvT_T0_DpT1_
		.amdhsa_group_segment_fixed_size 0
		.amdhsa_private_segment_fixed_size 0
		.amdhsa_kernarg_size 3408
		.amdhsa_user_sgpr_count 6
		.amdhsa_user_sgpr_private_segment_buffer 1
		.amdhsa_user_sgpr_dispatch_ptr 0
		.amdhsa_user_sgpr_queue_ptr 0
		.amdhsa_user_sgpr_kernarg_segment_ptr 1
		.amdhsa_user_sgpr_dispatch_id 0
		.amdhsa_user_sgpr_flat_scratch_init 0
		.amdhsa_user_sgpr_kernarg_preload_length 0
		.amdhsa_user_sgpr_kernarg_preload_offset 0
		.amdhsa_user_sgpr_private_segment_size 0
		.amdhsa_uses_dynamic_stack 0
		.amdhsa_system_sgpr_private_segment_wavefront_offset 0
		.amdhsa_system_sgpr_workgroup_id_x 1
		.amdhsa_system_sgpr_workgroup_id_y 0
		.amdhsa_system_sgpr_workgroup_id_z 0
		.amdhsa_system_sgpr_workgroup_info 0
		.amdhsa_system_vgpr_workitem_id 0
		.amdhsa_next_free_vgpr 46
		.amdhsa_next_free_sgpr 28
		.amdhsa_accum_offset 48
		.amdhsa_reserve_vcc 1
		.amdhsa_reserve_flat_scratch 0
		.amdhsa_float_round_mode_32 0
		.amdhsa_float_round_mode_16_64 0
		.amdhsa_float_denorm_mode_32 3
		.amdhsa_float_denorm_mode_16_64 3
		.amdhsa_dx10_clamp 1
		.amdhsa_ieee_mode 1
		.amdhsa_fp16_overflow 0
		.amdhsa_tg_split 0
		.amdhsa_exception_fp_ieee_invalid_op 0
		.amdhsa_exception_fp_denorm_src 0
		.amdhsa_exception_fp_ieee_div_zero 0
		.amdhsa_exception_fp_ieee_overflow 0
		.amdhsa_exception_fp_ieee_underflow 0
		.amdhsa_exception_fp_ieee_inexact 0
		.amdhsa_exception_int_div_zero 0
	.end_amdhsa_kernel
	.section	.text._ZN2at6native12_GLOBAL__N_125multi_tensor_apply_kernelINS1_18TensorListMetadataILi3EEENS1_20TernaryOpListFunctorIN3c104HalfELi3ELi3ELi0EEEJNS0_11LerpFunctorIfEEEEEvT_T0_DpT1_,"axG",@progbits,_ZN2at6native12_GLOBAL__N_125multi_tensor_apply_kernelINS1_18TensorListMetadataILi3EEENS1_20TernaryOpListFunctorIN3c104HalfELi3ELi3ELi0EEEJNS0_11LerpFunctorIfEEEEEvT_T0_DpT1_,comdat
.Lfunc_end10:
	.size	_ZN2at6native12_GLOBAL__N_125multi_tensor_apply_kernelINS1_18TensorListMetadataILi3EEENS1_20TernaryOpListFunctorIN3c104HalfELi3ELi3ELi0EEEJNS0_11LerpFunctorIfEEEEEvT_T0_DpT1_, .Lfunc_end10-_ZN2at6native12_GLOBAL__N_125multi_tensor_apply_kernelINS1_18TensorListMetadataILi3EEENS1_20TernaryOpListFunctorIN3c104HalfELi3ELi3ELi0EEEJNS0_11LerpFunctorIfEEEEEvT_T0_DpT1_
                                        ; -- End function
	.section	.AMDGPU.csdata,"",@progbits
; Kernel info:
; codeLenInByte = 2124
; NumSgprs: 32
; NumVgprs: 46
; NumAgprs: 0
; TotalNumVgprs: 46
; ScratchSize: 0
; MemoryBound: 0
; FloatMode: 240
; IeeeMode: 1
; LDSByteSize: 0 bytes/workgroup (compile time only)
; SGPRBlocks: 3
; VGPRBlocks: 5
; NumSGPRsForWavesPerEU: 32
; NumVGPRsForWavesPerEU: 46
; AccumOffset: 48
; Occupancy: 8
; WaveLimiterHint : 0
; COMPUTE_PGM_RSRC2:SCRATCH_EN: 0
; COMPUTE_PGM_RSRC2:USER_SGPR: 6
; COMPUTE_PGM_RSRC2:TRAP_HANDLER: 0
; COMPUTE_PGM_RSRC2:TGID_X_EN: 1
; COMPUTE_PGM_RSRC2:TGID_Y_EN: 0
; COMPUTE_PGM_RSRC2:TGID_Z_EN: 0
; COMPUTE_PGM_RSRC2:TIDIG_COMP_CNT: 0
; COMPUTE_PGM_RSRC3_GFX90A:ACCUM_OFFSET: 11
; COMPUTE_PGM_RSRC3_GFX90A:TG_SPLIT: 0
	.section	.text._ZN2at6native12_GLOBAL__N_125multi_tensor_apply_kernelINS1_18TensorListMetadataILi3EEENS1_20TernaryOpListFunctorIN3c108BFloat16ELi3ELi3ELi0EEEJNS0_11LerpFunctorIfEEEEEvT_T0_DpT1_,"axG",@progbits,_ZN2at6native12_GLOBAL__N_125multi_tensor_apply_kernelINS1_18TensorListMetadataILi3EEENS1_20TernaryOpListFunctorIN3c108BFloat16ELi3ELi3ELi0EEEJNS0_11LerpFunctorIfEEEEEvT_T0_DpT1_,comdat
	.globl	_ZN2at6native12_GLOBAL__N_125multi_tensor_apply_kernelINS1_18TensorListMetadataILi3EEENS1_20TernaryOpListFunctorIN3c108BFloat16ELi3ELi3ELi0EEEJNS0_11LerpFunctorIfEEEEEvT_T0_DpT1_ ; -- Begin function _ZN2at6native12_GLOBAL__N_125multi_tensor_apply_kernelINS1_18TensorListMetadataILi3EEENS1_20TernaryOpListFunctorIN3c108BFloat16ELi3ELi3ELi0EEEJNS0_11LerpFunctorIfEEEEEvT_T0_DpT1_
	.p2align	8
	.type	_ZN2at6native12_GLOBAL__N_125multi_tensor_apply_kernelINS1_18TensorListMetadataILi3EEENS1_20TernaryOpListFunctorIN3c108BFloat16ELi3ELi3ELi0EEEJNS0_11LerpFunctorIfEEEEEvT_T0_DpT1_,@function
_ZN2at6native12_GLOBAL__N_125multi_tensor_apply_kernelINS1_18TensorListMetadataILi3EEENS1_20TernaryOpListFunctorIN3c108BFloat16ELi3ELi3ELi0EEEJNS0_11LerpFunctorIfEEEEEvT_T0_DpT1_: ; @_ZN2at6native12_GLOBAL__N_125multi_tensor_apply_kernelINS1_18TensorListMetadataILi3EEENS1_20TernaryOpListFunctorIN3c108BFloat16ELi3ELi3ELi0EEEJNS0_11LerpFunctorIfEEEEEvT_T0_DpT1_
; %bb.0:
	v_mov_b32_e32 v1, s6
	global_load_ubyte v1, v1, s[4:5] offset:1536
	s_add_u32 s0, s4, s6
	s_mul_hi_u32 s2, s6, 3
	s_mul_i32 s6, s6, 3
	s_addc_u32 s7, s5, 0
	s_add_u32 s6, s0, s6
	s_addc_u32 s7, s7, s2
	s_load_dword s10, s[6:7], 0x740
	s_mov_b32 s1, 0
	s_mov_b32 s3, s1
	s_waitcnt lgkmcnt(0)
	s_ashr_i32 s11, s10, 31
	s_lshl_b64 s[8:9], s[10:11], 17
	s_waitcnt vmcnt(0)
	v_readfirstlane_b32 s0, v1
	s_lshl_b32 s0, s0, 3
	s_load_dwordx2 s[16:17], s[4:5], s0 offset:0x0
	s_load_dwordx2 s[14:15], s[4:5], s0 offset:0x180
	;; [unrolled: 1-line block ×4, first 2 shown]
	s_waitcnt lgkmcnt(0)
	s_and_b32 s0, s16, 7
	s_add_u32 s2, s14, s8
	s_or_b32 s2, s6, s2
	s_and_b32 s2, s2, 7
	s_cmp_lg_u32 s2, 0
	s_cselect_b64 s[18:19], -1, 0
	s_lshl_b64 s[10:11], s[10:11], 16
	s_sub_u32 s10, s12, s10
	s_subb_u32 s11, s13, s11
	s_and_b32 s2, s12, 3
	s_or_b64 s[2:3], s[0:1], s[2:3]
	s_cmp_lg_u64 s[2:3], 0
	s_cselect_b64 s[2:3], -1, 0
	s_or_b64 s[2:3], s[18:19], s[2:3]
	s_andn2_b64 vcc, exec, s[2:3]
	s_mov_b64 s[2:3], -1
	s_cbranch_vccz .LBB11_5
; %bb.1:
	v_mov_b32_e32 v3, 0
	v_lshlrev_b32_e32 v2, 2, v0
	v_cmp_gt_i64_e32 vcc, s[10:11], v[2:3]
	s_and_saveexec_b64 s[12:13], vcc
	s_cbranch_execz .LBB11_4
; %bb.2:
	s_load_dword s0, s[4:5], 0xc5c
	v_lshlrev_b32_e32 v1, 3, v0
	v_mov_b32_e32 v2, s9
	v_add_co_u32_e32 v4, vcc, s8, v1
	s_waitcnt lgkmcnt(0)
	s_and_b32 s0, s0, 0xffff
	v_addc_co_u32_e32 v1, vcc, 0, v2, vcc
	s_lshl_b32 s22, s0, 3
	v_add_lshl_u32 v2, v0, s0, 2
	s_lshl_b32 s23, s0, 2
	s_mov_b64 s[18:19], 0
	v_mov_b32_e32 v5, s17
	v_mov_b32_e32 v6, s15
	;; [unrolled: 1-line block ×3, first 2 shown]
	s_movk_i32 s24, 0x7fff
	v_mov_b32_e32 v8, 0x7fc0
	v_mov_b32_e32 v9, 0x7fc00000
	s_mov_b64 s[20:21], 0xffff
	v_mov_b32_e32 v10, s1
	v_mov_b32_e32 v11, s1
.LBB11_3:                               ; =>This Inner Loop Header: Depth=1
	v_add_co_u32_e32 v12, vcc, s16, v4
	v_addc_co_u32_e32 v13, vcc, v5, v1, vcc
	v_add_co_u32_e32 v14, vcc, s14, v4
	v_addc_co_u32_e32 v15, vcc, v6, v1, vcc
	;; [unrolled: 2-line block ×3, first 2 shown]
	global_load_dwordx2 v[18:19], v[12:13], off
	global_load_dwordx2 v[20:21], v[14:15], off
	;; [unrolled: 1-line block ×3, first 2 shown]
	v_add_co_u32_e64 v4, s[2:3], s22, v4
	v_addc_co_u32_e64 v1, s[2:3], v1, v10, s[2:3]
	v_cmp_le_i64_e32 vcc, s[10:11], v[2:3]
	v_cmp_lt_u64_e64 s[0:1], s[20:21], v[2:3]
	v_add_co_u32_e64 v2, s[2:3], s23, v2
	v_addc_co_u32_e64 v3, s[2:3], v3, v11, s[2:3]
	s_or_b64 s[0:1], vcc, s[0:1]
	s_and_b64 s[0:1], exec, s[0:1]
	s_or_b64 s[18:19], s[0:1], s[18:19]
	s_waitcnt vmcnt(2)
	v_lshlrev_b32_e32 v14, 16, v18
	s_waitcnt vmcnt(1)
	v_lshlrev_b32_e32 v15, 16, v20
	;; [unrolled: 2-line block ×3, first 2 shown]
	v_and_b32_e32 v17, 0xffff0000, v18
	v_and_b32_e32 v24, 0xffff0000, v20
	;; [unrolled: 1-line block ×3, first 2 shown]
	v_alignbit_b32 v18, v19, v18, 16
	v_alignbit_b32 v20, v21, v20, 16
	;; [unrolled: 1-line block ×3, first 2 shown]
	v_and_b32_e32 v19, 0xffff0000, v19
	v_and_b32_e32 v21, 0xffff0000, v21
	;; [unrolled: 1-line block ×3, first 2 shown]
	v_sub_f32_e32 v26, v15, v14
	v_sub_f32_e32 v27, 1.0, v16
	v_sub_f32_e32 v28, v24, v17
	v_sub_f32_e32 v29, 1.0, v25
	v_and_b32_e32 v18, 0xffff0000, v18
	v_and_b32_e32 v20, 0xffff0000, v20
	;; [unrolled: 1-line block ×3, first 2 shown]
	v_sub_f32_e32 v30, v21, v19
	v_sub_f32_e32 v31, 1.0, v23
	v_fmac_f32_e32 v14, v26, v16
	v_fma_f32 v15, -v26, v27, v15
	v_fmac_f32_e32 v17, v28, v25
	v_fma_f32 v24, -v28, v29, v24
	v_cmp_lt_f32_e64 vcc, |v25|, 0.5
	v_sub_f32_e32 v25, v20, v18
	v_sub_f32_e32 v26, 1.0, v22
	v_cmp_lt_f32_e64 s[2:3], |v16|, 0.5
	v_fmac_f32_e32 v19, v30, v23
	v_fma_f32 v21, -v30, v31, v21
	v_cmp_lt_f32_e64 s[0:1], |v23|, 0.5
	v_cndmask_b32_e64 v14, v15, v14, s[2:3]
	v_cndmask_b32_e32 v15, v24, v17, vcc
	v_fmac_f32_e32 v18, v25, v22
	v_fma_f32 v16, -v25, v26, v20
	v_cmp_lt_f32_e64 vcc, |v22|, 0.5
	v_cndmask_b32_e64 v17, v21, v19, s[0:1]
	v_bfe_u32 v19, v14, 16, 1
	v_bfe_u32 v20, v15, 16, 1
	v_cndmask_b32_e32 v16, v16, v18, vcc
	v_bfe_u32 v18, v17, 16, 1
	v_add3_u32 v19, v14, v19, s24
	v_add3_u32 v20, v15, v20, s24
	v_bfe_u32 v21, v16, 16, 1
	v_add3_u32 v18, v17, v18, s24
	v_lshrrev_b32_e32 v19, 16, v19
	v_and_b32_e32 v20, 0xffff0000, v20
	v_cmp_o_f32_e32 vcc, v15, v15
	v_add3_u32 v15, v16, v21, s24
	v_cmp_o_f32_e64 s[2:3], v14, v14
	v_and_b32_e32 v18, 0xffff0000, v18
	v_cmp_o_f32_e64 s[0:1], v17, v17
	v_cndmask_b32_e64 v14, v8, v19, s[2:3]
	v_cndmask_b32_e32 v17, v9, v20, vcc
	v_lshrrev_b32_e32 v15, 16, v15
	v_cmp_o_f32_e32 vcc, v16, v16
	v_cndmask_b32_e64 v18, v9, v18, s[0:1]
	v_or_b32_e32 v14, v14, v17
	v_cndmask_b32_e32 v15, v8, v15, vcc
	v_or3_b32 v15, 0, v15, v18
	v_or3_b32 v14, v14, 0, 0
	global_store_dwordx2 v[12:13], v[14:15], off
	s_andn2_b64 exec, exec, s[18:19]
	s_cbranch_execnz .LBB11_3
.LBB11_4:
	s_or_b64 exec, exec, s[12:13]
	s_mov_b64 s[2:3], 0
.LBB11_5:
	s_andn2_b64 vcc, exec, s[2:3]
	s_cbranch_vccnz .LBB11_33
; %bb.6:
	v_cmp_lt_i64_e64 s[0:1], s[10:11], 1
	s_and_b64 vcc, exec, s[0:1]
	s_cbranch_vccnz .LBB11_33
; %bb.7:
	s_load_dword s0, s[4:5], 0xc5c
	v_mov_b32_e32 v2, 0x10000
	v_mov_b32_e32 v3, 0
	v_cmp_lt_u64_e32 vcc, s[10:11], v[2:3]
	v_lshlrev_b32_e32 v14, 1, v0
	s_waitcnt lgkmcnt(0)
	s_and_b32 s2, s0, 0xffff
	s_and_b64 s[0:1], vcc, exec
	v_mov_b32_e32 v19, s17
	v_add_co_u32_e32 v2, vcc, s16, v14
	v_addc_co_u32_e32 v1, vcc, 0, v19, vcc
	v_mov_b32_e32 v21, s15
	v_add_co_u32_e32 v4, vcc, s14, v14
	v_addc_co_u32_e32 v3, vcc, 0, v21, vcc
	v_mov_b32_e32 v15, 0
	v_mov_b32_e32 v23, s7
	v_add_co_u32_e32 v6, vcc, s6, v14
	v_addc_co_u32_e32 v5, vcc, 0, v23, vcc
	v_mad_u64_u32 v[12:13], s[0:1], s2, 6, v[14:15]
	v_add_co_u32_e32 v8, vcc, s16, v12
	v_addc_co_u32_e32 v7, vcc, v19, v13, vcc
	v_add_co_u32_e32 v10, vcc, s14, v12
	v_addc_co_u32_e32 v9, vcc, v21, v13, vcc
	v_add_co_u32_e32 v12, vcc, s6, v12
	s_mul_i32 s4, s2, 3
	v_addc_co_u32_e32 v11, vcc, v23, v13, vcc
	s_cselect_b32 s13, s11, 0
	s_cselect_b32 s12, s10, 0x10000
	s_lshl_b32 s19, s2, 2
	v_add_co_u32_e32 v32, vcc, s4, v0
	v_addc_co_u32_e64 v33, s[0:1], 0, 0, vcc
	v_add_co_u32_e32 v17, vcc, s19, v14
	v_addc_co_u32_e64 v20, s[0:1], 0, 0, vcc
	v_add_co_u32_e32 v14, vcc, s16, v17
	v_addc_co_u32_e32 v13, vcc, v19, v20, vcc
	v_add_co_u32_e32 v16, vcc, s14, v17
	v_addc_co_u32_e32 v15, vcc, v21, v20, vcc
	v_add_co_u32_e32 v18, vcc, s6, v17
	s_lshl_b32 s3, s2, 1
	v_addc_co_u32_e32 v17, vcc, v23, v20, vcc
	v_add_co_u32_e32 v34, vcc, s3, v0
	v_addc_co_u32_e64 v35, s[0:1], 0, 0, vcc
	v_add_co_u32_e32 v36, vcc, s2, v0
	v_lshlrev_b32_e32 v24, 1, v36
	v_addc_co_u32_e64 v37, s[0:1], 0, 0, vcc
	v_add_co_u32_e32 v20, vcc, s16, v24
	v_addc_co_u32_e32 v19, vcc, 0, v19, vcc
	v_add_co_u32_e32 v22, vcc, s14, v24
	v_addc_co_u32_e32 v21, vcc, 0, v21, vcc
	v_add_co_u32_e32 v24, vcc, s6, v24
	s_mov_b32 s18, 0
	s_lshl_b32 s20, s2, 3
	v_addc_co_u32_e32 v23, vcc, 0, v23, vcc
	s_mov_b64 s[14:15], 0
	v_mov_b32_e32 v27, 1.0
	s_movk_i32 s21, 0x7fff
	v_mov_b32_e32 v38, 0x7fc0
	s_branch .LBB11_9
.LBB11_8:                               ;   in Loop: Header=BB11_9 Depth=1
	s_or_b64 exec, exec, s[0:1]
	s_add_u32 s14, s14, s19
	s_addc_u32 s15, s15, 0
	v_pk_mov_b32 v[28:29], s[10:11], s[10:11] op_sel:[0,1]
	v_cmp_ge_i64_e32 vcc, s[14:15], v[28:29]
	v_mov_b32_e32 v28, 0xffff
	v_mov_b32_e32 v29, 0
	v_cmp_gt_u64_e64 s[0:1], s[14:15], v[28:29]
	s_or_b64 s[0:1], vcc, s[0:1]
	v_mov_b32_e32 v25, s18
	v_add_co_u32_e32 v2, vcc, s20, v2
	v_addc_co_u32_e32 v1, vcc, v1, v25, vcc
	v_add_co_u32_e32 v4, vcc, s20, v4
	v_addc_co_u32_e32 v3, vcc, v3, v25, vcc
	;; [unrolled: 2-line block ×12, first 2 shown]
	s_and_b64 vcc, exec, s[0:1]
	s_cbranch_vccnz .LBB11_33
.LBB11_9:                               ; =>This Inner Loop Header: Depth=1
	v_mov_b32_e32 v25, s15
	v_add_co_u32_e32 v28, vcc, s14, v0
	v_addc_co_u32_e32 v29, vcc, 0, v25, vcc
	v_cmp_gt_u64_e32 vcc, s[12:13], v[28:29]
	v_pk_mov_b32 v[28:29], 0, 0
	v_pk_mov_b32 v[30:31], v[28:29], v[28:29] op_sel:[0,1]
	s_waitcnt vmcnt(0)
	v_mov_b32_e32 v26, 0
	s_and_saveexec_b64 s[2:3], vcc
	s_cbranch_execz .LBB11_11
; %bb.10:                               ;   in Loop: Header=BB11_9 Depth=1
	v_mov_b32_e32 v25, s9
	v_add_co_u32_e64 v30, s[0:1], s8, v2
	v_addc_co_u32_e64 v31, s[0:1], v1, v25, s[0:1]
	global_load_ushort v39, v[30:31], off
	v_add_co_u32_e64 v30, s[0:1], s8, v4
	v_addc_co_u32_e64 v31, s[0:1], v3, v25, s[0:1]
	global_load_ushort v26, v[30:31], off
	v_mov_b32_e32 v31, s18
	s_waitcnt vmcnt(1)
	v_and_b32_e32 v30, 0xffff, v39
.LBB11_11:                              ;   in Loop: Header=BB11_9 Depth=1
	s_or_b64 exec, exec, s[2:3]
	s_and_saveexec_b64 s[2:3], vcc
	s_cbranch_execz .LBB11_13
; %bb.12:                               ;   in Loop: Header=BB11_9 Depth=1
	v_mov_b32_e32 v25, s9
	v_add_co_u32_e64 v28, s[0:1], s8, v6
	v_addc_co_u32_e64 v29, s[0:1], v5, v25, s[0:1]
	global_load_ushort v25, v[28:29], off
	v_mov_b32_e32 v29, s18
	s_waitcnt vmcnt(0)
	v_and_b32_e32 v28, 0xffff, v25
.LBB11_13:                              ;   in Loop: Header=BB11_9 Depth=1
	s_or_b64 exec, exec, s[2:3]
	v_mov_b32_e32 v25, s15
	v_add_co_u32_e64 v40, s[0:1], s14, v36
	v_addc_co_u32_e64 v41, s[0:1], v37, v25, s[0:1]
	v_cmp_gt_u64_e64 s[0:1], s[12:13], v[40:41]
	v_mov_b32_e32 v39, 0
	s_and_saveexec_b64 s[4:5], s[0:1]
	s_cbranch_execz .LBB11_15
; %bb.14:                               ;   in Loop: Header=BB11_9 Depth=1
	v_mov_b32_e32 v25, s9
	v_add_co_u32_e64 v40, s[2:3], s8, v20
	v_addc_co_u32_e64 v41, s[2:3], v19, v25, s[2:3]
	global_load_ushort v42, v[40:41], off
	v_add_co_u32_e64 v40, s[2:3], s8, v22
	v_addc_co_u32_e64 v41, s[2:3], v21, v25, s[2:3]
	global_load_ushort v39, v[40:41], off
	s_waitcnt vmcnt(1)
	v_lshl_or_b32 v30, v42, 16, v30
.LBB11_15:                              ;   in Loop: Header=BB11_9 Depth=1
	s_or_b64 exec, exec, s[4:5]
	s_and_saveexec_b64 s[4:5], s[0:1]
	s_cbranch_execz .LBB11_17
; %bb.16:                               ;   in Loop: Header=BB11_9 Depth=1
	v_mov_b32_e32 v25, s9
	v_add_co_u32_e64 v40, s[2:3], s8, v24
	v_addc_co_u32_e64 v41, s[2:3], v23, v25, s[2:3]
	global_load_ushort v25, v[40:41], off
	s_waitcnt vmcnt(0)
	v_lshl_or_b32 v28, v25, 16, v28
.LBB11_17:                              ;   in Loop: Header=BB11_9 Depth=1
	s_or_b64 exec, exec, s[4:5]
	v_mov_b32_e32 v25, s15
	v_add_co_u32_e64 v40, s[2:3], s14, v34
	v_addc_co_u32_e64 v41, s[2:3], v35, v25, s[2:3]
	v_cmp_gt_u64_e64 s[2:3], s[12:13], v[40:41]
	v_mov_b32_e32 v40, 0
	s_and_saveexec_b64 s[6:7], s[2:3]
	s_cbranch_execz .LBB11_19
; %bb.18:                               ;   in Loop: Header=BB11_9 Depth=1
	v_mov_b32_e32 v25, s9
	v_add_co_u32_e64 v40, s[4:5], s8, v14
	v_addc_co_u32_e64 v41, s[4:5], v13, v25, s[4:5]
	global_load_ushort v42, v[40:41], off
	v_add_co_u32_e64 v40, s[4:5], s8, v16
	v_addc_co_u32_e64 v41, s[4:5], v15, v25, s[4:5]
	global_load_ushort v40, v[40:41], off
	s_waitcnt vmcnt(1)
	v_or_b32_e32 v31, v42, v31
.LBB11_19:                              ;   in Loop: Header=BB11_9 Depth=1
	s_or_b64 exec, exec, s[6:7]
	s_and_saveexec_b64 s[6:7], s[2:3]
	s_cbranch_execz .LBB11_21
; %bb.20:                               ;   in Loop: Header=BB11_9 Depth=1
	v_mov_b32_e32 v25, s9
	v_add_co_u32_e64 v42, s[4:5], s8, v18
	v_addc_co_u32_e64 v43, s[4:5], v17, v25, s[4:5]
	global_load_ushort v25, v[42:43], off
	s_waitcnt vmcnt(0)
	v_or_b32_e32 v29, v25, v29
.LBB11_21:                              ;   in Loop: Header=BB11_9 Depth=1
	s_or_b64 exec, exec, s[6:7]
	v_mov_b32_e32 v25, s15
	v_add_co_u32_e64 v42, s[4:5], s14, v32
	v_addc_co_u32_e64 v43, s[4:5], v33, v25, s[4:5]
	v_cmp_gt_u64_e64 s[4:5], s[12:13], v[42:43]
	v_mov_b32_e32 v41, 0
	s_and_saveexec_b64 s[16:17], s[4:5]
	s_cbranch_execnz .LBB11_27
; %bb.22:                               ;   in Loop: Header=BB11_9 Depth=1
	s_or_b64 exec, exec, s[16:17]
	s_and_saveexec_b64 s[16:17], s[4:5]
	s_cbranch_execnz .LBB11_28
.LBB11_23:                              ;   in Loop: Header=BB11_9 Depth=1
	s_or_b64 exec, exec, s[16:17]
	v_mov_b32_e32 v25, v28
	s_and_saveexec_b64 s[6:7], vcc
	s_cbranch_execnz .LBB11_29
.LBB11_24:                              ;   in Loop: Header=BB11_9 Depth=1
	s_or_b64 exec, exec, s[6:7]
	s_and_saveexec_b64 s[6:7], s[0:1]
	s_cbranch_execnz .LBB11_30
.LBB11_25:                              ;   in Loop: Header=BB11_9 Depth=1
	s_or_b64 exec, exec, s[6:7]
	s_and_saveexec_b64 s[0:1], s[2:3]
	s_cbranch_execnz .LBB11_31
.LBB11_26:                              ;   in Loop: Header=BB11_9 Depth=1
	s_or_b64 exec, exec, s[0:1]
	s_and_saveexec_b64 s[0:1], s[4:5]
	s_cbranch_execz .LBB11_8
	s_branch .LBB11_32
.LBB11_27:                              ;   in Loop: Header=BB11_9 Depth=1
	v_mov_b32_e32 v25, s9
	v_add_co_u32_e64 v42, s[6:7], s8, v8
	v_addc_co_u32_e64 v43, s[6:7], v7, v25, s[6:7]
	global_load_ushort v44, v[42:43], off
	v_add_co_u32_e64 v42, s[6:7], s8, v10
	v_addc_co_u32_e64 v43, s[6:7], v9, v25, s[6:7]
	global_load_ushort v41, v[42:43], off
	s_waitcnt vmcnt(1)
	v_lshlrev_b32_e32 v25, 16, v44
	v_or_b32_e32 v31, v25, v31
	s_or_b64 exec, exec, s[16:17]
	s_and_saveexec_b64 s[16:17], s[4:5]
	s_cbranch_execz .LBB11_23
.LBB11_28:                              ;   in Loop: Header=BB11_9 Depth=1
	v_mov_b32_e32 v25, s9
	v_add_co_u32_e64 v42, s[6:7], s8, v12
	v_addc_co_u32_e64 v43, s[6:7], v11, v25, s[6:7]
	global_load_ushort v25, v[42:43], off
	s_waitcnt vmcnt(0)
	v_lshlrev_b32_e32 v25, 16, v25
	v_or_b32_e32 v29, v25, v29
	s_or_b64 exec, exec, s[16:17]
	v_mov_b32_e32 v25, v28
	s_and_saveexec_b64 s[6:7], vcc
	s_cbranch_execz .LBB11_24
.LBB11_29:                              ;   in Loop: Header=BB11_9 Depth=1
	v_lshlrev_b32_e32 v43, 16, v25
	v_lshlrev_b32_e32 v42, 16, v30
	s_waitcnt vmcnt(0)
	v_lshlrev_b32_e32 v26, 16, v26
	v_pk_add_f32 v[44:45], v[26:27], v[42:43] neg_lo:[0,1] neg_hi:[0,1]
	v_fmac_f32_e32 v42, v44, v43
	v_fma_f32 v26, -v44, v45, v26
	v_cmp_lt_f32_e64 vcc, |v43|, 0.5
	v_cndmask_b32_e32 v26, v26, v42, vcc
	v_bfe_u32 v28, v26, 16, 1
	v_mov_b32_e32 v43, s9
	v_add_co_u32_e32 v42, vcc, s8, v2
	v_add3_u32 v28, v26, v28, s21
	v_addc_co_u32_e32 v43, vcc, v1, v43, vcc
	v_lshrrev_b32_e32 v28, 16, v28
	v_cmp_o_f32_e32 vcc, v26, v26
	v_cndmask_b32_e32 v26, v38, v28, vcc
	global_store_short v[42:43], v26, off
	s_or_b64 exec, exec, s[6:7]
	s_and_saveexec_b64 s[6:7], s[0:1]
	s_cbranch_execz .LBB11_25
.LBB11_30:                              ;   in Loop: Header=BB11_9 Depth=1
	s_waitcnt vmcnt(0)
	v_lshlrev_b32_e32 v26, 16, v39
	v_and_b32_e32 v43, 0xffff0000, v25
	v_and_b32_e32 v42, 0xffff0000, v30
	v_pk_add_f32 v[44:45], v[26:27], v[42:43] neg_lo:[0,1] neg_hi:[0,1]
	v_fmac_f32_e32 v42, v44, v43
	v_fma_f32 v25, -v44, v45, v26
	v_cmp_lt_f32_e64 vcc, |v43|, 0.5
	v_cndmask_b32_e32 v25, v25, v42, vcc
	v_bfe_u32 v26, v25, 16, 1
	v_add3_u32 v26, v25, v26, s21
	v_lshrrev_b32_e32 v26, 16, v26
	v_cmp_o_f32_e32 vcc, v25, v25
	v_cndmask_b32_e32 v25, v38, v26, vcc
	v_mov_b32_e32 v26, s9
	v_add_co_u32_e32 v42, vcc, s8, v20
	v_addc_co_u32_e32 v43, vcc, v19, v26, vcc
	global_store_short v[42:43], v25, off
	s_or_b64 exec, exec, s[6:7]
	s_and_saveexec_b64 s[0:1], s[2:3]
	s_cbranch_execz .LBB11_26
.LBB11_31:                              ;   in Loop: Header=BB11_9 Depth=1
	v_alignbit_b32 v25, v31, s0, 16
	v_alignbit_b32 v28, v29, s0, 16
	s_waitcnt vmcnt(0)
	v_lshlrev_b32_e32 v26, 16, v40
	v_and_b32_e32 v43, 0xffff0000, v28
	v_and_b32_e32 v42, 0xffff0000, v25
	v_pk_add_f32 v[44:45], v[26:27], v[42:43] neg_lo:[0,1] neg_hi:[0,1]
	v_fmac_f32_e32 v42, v44, v43
	v_fma_f32 v25, -v44, v45, v26
	v_cmp_lt_f32_e64 vcc, |v43|, 0.5
	v_cndmask_b32_e32 v25, v25, v42, vcc
	v_bfe_u32 v26, v25, 16, 1
	v_add3_u32 v26, v25, v26, s21
	v_lshrrev_b32_e32 v26, 16, v26
	v_cmp_o_f32_e32 vcc, v25, v25
	v_cndmask_b32_e32 v25, v38, v26, vcc
	v_mov_b32_e32 v26, s9
	v_add_co_u32_e32 v42, vcc, s8, v14
	v_addc_co_u32_e32 v43, vcc, v13, v26, vcc
	global_store_short v[42:43], v25, off
	s_or_b64 exec, exec, s[0:1]
	s_and_saveexec_b64 s[0:1], s[4:5]
	s_cbranch_execz .LBB11_8
.LBB11_32:                              ;   in Loop: Header=BB11_9 Depth=1
	s_waitcnt vmcnt(0)
	v_lshlrev_b32_e32 v26, 16, v41
	v_and_b32_e32 v29, 0xffff0000, v29
	v_and_b32_e32 v28, 0xffff0000, v31
	v_pk_add_f32 v[30:31], v[26:27], v[28:29] neg_lo:[0,1] neg_hi:[0,1]
	v_fmac_f32_e32 v28, v30, v29
	v_fma_f32 v25, -v30, v31, v26
	v_cmp_lt_f32_e64 vcc, |v29|, 0.5
	v_cndmask_b32_e32 v25, v25, v28, vcc
	v_bfe_u32 v26, v25, 16, 1
	v_add3_u32 v26, v25, v26, s21
	v_lshrrev_b32_e32 v26, 16, v26
	v_cmp_o_f32_e32 vcc, v25, v25
	v_cndmask_b32_e32 v25, v38, v26, vcc
	v_mov_b32_e32 v26, s9
	v_add_co_u32_e32 v28, vcc, s8, v8
	v_addc_co_u32_e32 v29, vcc, v7, v26, vcc
	global_store_short v[28:29], v25, off
	s_branch .LBB11_8
.LBB11_33:
	s_endpgm
	.section	.rodata,"a",@progbits
	.p2align	6, 0x0
	.amdhsa_kernel _ZN2at6native12_GLOBAL__N_125multi_tensor_apply_kernelINS1_18TensorListMetadataILi3EEENS1_20TernaryOpListFunctorIN3c108BFloat16ELi3ELi3ELi0EEEJNS0_11LerpFunctorIfEEEEEvT_T0_DpT1_
		.amdhsa_group_segment_fixed_size 0
		.amdhsa_private_segment_fixed_size 0
		.amdhsa_kernarg_size 3408
		.amdhsa_user_sgpr_count 6
		.amdhsa_user_sgpr_private_segment_buffer 1
		.amdhsa_user_sgpr_dispatch_ptr 0
		.amdhsa_user_sgpr_queue_ptr 0
		.amdhsa_user_sgpr_kernarg_segment_ptr 1
		.amdhsa_user_sgpr_dispatch_id 0
		.amdhsa_user_sgpr_flat_scratch_init 0
		.amdhsa_user_sgpr_kernarg_preload_length 0
		.amdhsa_user_sgpr_kernarg_preload_offset 0
		.amdhsa_user_sgpr_private_segment_size 0
		.amdhsa_uses_dynamic_stack 0
		.amdhsa_system_sgpr_private_segment_wavefront_offset 0
		.amdhsa_system_sgpr_workgroup_id_x 1
		.amdhsa_system_sgpr_workgroup_id_y 0
		.amdhsa_system_sgpr_workgroup_id_z 0
		.amdhsa_system_sgpr_workgroup_info 0
		.amdhsa_system_vgpr_workitem_id 0
		.amdhsa_next_free_vgpr 46
		.amdhsa_next_free_sgpr 25
		.amdhsa_accum_offset 48
		.amdhsa_reserve_vcc 1
		.amdhsa_reserve_flat_scratch 0
		.amdhsa_float_round_mode_32 0
		.amdhsa_float_round_mode_16_64 0
		.amdhsa_float_denorm_mode_32 3
		.amdhsa_float_denorm_mode_16_64 3
		.amdhsa_dx10_clamp 1
		.amdhsa_ieee_mode 1
		.amdhsa_fp16_overflow 0
		.amdhsa_tg_split 0
		.amdhsa_exception_fp_ieee_invalid_op 0
		.amdhsa_exception_fp_denorm_src 0
		.amdhsa_exception_fp_ieee_div_zero 0
		.amdhsa_exception_fp_ieee_overflow 0
		.amdhsa_exception_fp_ieee_underflow 0
		.amdhsa_exception_fp_ieee_inexact 0
		.amdhsa_exception_int_div_zero 0
	.end_amdhsa_kernel
	.section	.text._ZN2at6native12_GLOBAL__N_125multi_tensor_apply_kernelINS1_18TensorListMetadataILi3EEENS1_20TernaryOpListFunctorIN3c108BFloat16ELi3ELi3ELi0EEEJNS0_11LerpFunctorIfEEEEEvT_T0_DpT1_,"axG",@progbits,_ZN2at6native12_GLOBAL__N_125multi_tensor_apply_kernelINS1_18TensorListMetadataILi3EEENS1_20TernaryOpListFunctorIN3c108BFloat16ELi3ELi3ELi0EEEJNS0_11LerpFunctorIfEEEEEvT_T0_DpT1_,comdat
.Lfunc_end11:
	.size	_ZN2at6native12_GLOBAL__N_125multi_tensor_apply_kernelINS1_18TensorListMetadataILi3EEENS1_20TernaryOpListFunctorIN3c108BFloat16ELi3ELi3ELi0EEEJNS0_11LerpFunctorIfEEEEEvT_T0_DpT1_, .Lfunc_end11-_ZN2at6native12_GLOBAL__N_125multi_tensor_apply_kernelINS1_18TensorListMetadataILi3EEENS1_20TernaryOpListFunctorIN3c108BFloat16ELi3ELi3ELi0EEEJNS0_11LerpFunctorIfEEEEEvT_T0_DpT1_
                                        ; -- End function
	.section	.AMDGPU.csdata,"",@progbits
; Kernel info:
; codeLenInByte = 2492
; NumSgprs: 29
; NumVgprs: 46
; NumAgprs: 0
; TotalNumVgprs: 46
; ScratchSize: 0
; MemoryBound: 0
; FloatMode: 240
; IeeeMode: 1
; LDSByteSize: 0 bytes/workgroup (compile time only)
; SGPRBlocks: 3
; VGPRBlocks: 5
; NumSGPRsForWavesPerEU: 29
; NumVGPRsForWavesPerEU: 46
; AccumOffset: 48
; Occupancy: 8
; WaveLimiterHint : 0
; COMPUTE_PGM_RSRC2:SCRATCH_EN: 0
; COMPUTE_PGM_RSRC2:USER_SGPR: 6
; COMPUTE_PGM_RSRC2:TRAP_HANDLER: 0
; COMPUTE_PGM_RSRC2:TGID_X_EN: 1
; COMPUTE_PGM_RSRC2:TGID_Y_EN: 0
; COMPUTE_PGM_RSRC2:TGID_Z_EN: 0
; COMPUTE_PGM_RSRC2:TIDIG_COMP_CNT: 0
; COMPUTE_PGM_RSRC3_GFX90A:ACCUM_OFFSET: 11
; COMPUTE_PGM_RSRC3_GFX90A:TG_SPLIT: 0
	.section	.text._ZN2at6native12_GLOBAL__N_125multi_tensor_apply_kernelINS1_18TensorListMetadataILi3EEENS1_22TernaryOpScalarFunctorIdLi3ELi2ELi2EEEJNS0_11LerpFunctorIdEEdEEEvT_T0_DpT1_,"axG",@progbits,_ZN2at6native12_GLOBAL__N_125multi_tensor_apply_kernelINS1_18TensorListMetadataILi3EEENS1_22TernaryOpScalarFunctorIdLi3ELi2ELi2EEEJNS0_11LerpFunctorIdEEdEEEvT_T0_DpT1_,comdat
	.globl	_ZN2at6native12_GLOBAL__N_125multi_tensor_apply_kernelINS1_18TensorListMetadataILi3EEENS1_22TernaryOpScalarFunctorIdLi3ELi2ELi2EEEJNS0_11LerpFunctorIdEEdEEEvT_T0_DpT1_ ; -- Begin function _ZN2at6native12_GLOBAL__N_125multi_tensor_apply_kernelINS1_18TensorListMetadataILi3EEENS1_22TernaryOpScalarFunctorIdLi3ELi2ELi2EEEJNS0_11LerpFunctorIdEEdEEEvT_T0_DpT1_
	.p2align	8
	.type	_ZN2at6native12_GLOBAL__N_125multi_tensor_apply_kernelINS1_18TensorListMetadataILi3EEENS1_22TernaryOpScalarFunctorIdLi3ELi2ELi2EEEJNS0_11LerpFunctorIdEEdEEEvT_T0_DpT1_,@function
_ZN2at6native12_GLOBAL__N_125multi_tensor_apply_kernelINS1_18TensorListMetadataILi3EEENS1_22TernaryOpScalarFunctorIdLi3ELi2ELi2EEEJNS0_11LerpFunctorIdEEdEEEvT_T0_DpT1_: ; @_ZN2at6native12_GLOBAL__N_125multi_tensor_apply_kernelINS1_18TensorListMetadataILi3EEENS1_22TernaryOpScalarFunctorIdLi3ELi2ELi2EEEJNS0_11LerpFunctorIdEEdEEEvT_T0_DpT1_
; %bb.0:
	v_mov_b32_e32 v1, s6
	global_load_ubyte v1, v1, s[4:5] offset:1536
	s_add_u32 s0, s4, s6
	s_mul_hi_u32 s1, s6, 3
	s_mul_i32 s6, s6, 3
	s_addc_u32 s2, s5, 0
	s_add_u32 s0, s0, s6
	s_addc_u32 s1, s2, s1
	s_load_dword s2, s[0:1], 0x740
	s_load_dwordx2 s[10:11], s[4:5], 0xc50
	s_mov_b32 s1, 0
	s_mov_b32 s7, s1
	s_waitcnt lgkmcnt(0)
	s_ashr_i32 s3, s2, 31
	s_lshl_b64 s[12:13], s[2:3], 19
	s_waitcnt vmcnt(0)
	v_readfirstlane_b32 s0, v1
	s_lshl_b32 s0, s0, 3
	s_load_dwordx2 s[20:21], s[4:5], s0 offset:0x0
	s_load_dwordx2 s[18:19], s[4:5], s0 offset:0x180
	;; [unrolled: 1-line block ×4, first 2 shown]
	s_waitcnt lgkmcnt(0)
	s_add_u32 s26, s20, s12
	s_addc_u32 s27, s21, s13
	s_and_b32 s0, s26, 31
	s_add_u32 s28, s18, s12
	s_addc_u32 s29, s19, s13
	s_add_u32 s30, s8, s12
	s_addc_u32 s31, s9, s13
	s_or_b32 s6, s30, s28
	s_and_b32 s6, s6, 31
	s_cmp_lg_u32 s6, 0
	s_cselect_b64 s[22:23], -1, 0
	s_lshl_b64 s[2:3], s[2:3], 16
	s_sub_u32 s14, s16, s2
	s_subb_u32 s15, s17, s3
	s_and_b32 s6, s16, 3
	s_or_b64 s[2:3], s[0:1], s[6:7]
	s_cmp_lg_u64 s[2:3], 0
	s_cselect_b64 s[2:3], -1, 0
	s_or_b64 s[2:3], s[22:23], s[2:3]
	s_andn2_b64 vcc, exec, s[2:3]
	s_mov_b64 s[2:3], -1
	s_cbranch_vccz .LBB12_5
; %bb.1:
	v_mov_b32_e32 v3, 0
	v_lshlrev_b32_e32 v2, 2, v0
	v_cmp_gt_i64_e32 vcc, s[14:15], v[2:3]
	s_and_saveexec_b64 s[16:17], vcc
	s_cbranch_execz .LBB12_4
; %bb.2:
	s_load_dword s0, s[4:5], 0xc64
	v_cmp_lt_f64_e64 vcc, |s[10:11]|, 0.5
	v_add_f64 v[4:5], -s[10:11], 1.0
	v_lshlrev_b32_e32 v6, 5, v0
	s_mov_b64 s[22:23], 0
	s_waitcnt lgkmcnt(0)
	s_and_b32 s0, s0, 0xffff
	v_add_lshl_u32 v2, v0, s0, 2
	s_lshl_b32 s33, s0, 2
	s_lshl_b32 s34, s0, 5
	s_mov_b64 s[24:25], 0xffff
	v_mov_b32_e32 v1, s1
.LBB12_3:                               ; =>This Inner Loop Header: Depth=1
	v_mov_b32_e32 v7, s27
	v_add_co_u32_e64 v26, s[2:3], s26, v6
	v_mov_b32_e32 v8, s29
	v_add_co_u32_e64 v24, s[0:1], s28, v6
	v_addc_co_u32_e64 v27, s[2:3], 0, v7, s[2:3]
	v_addc_co_u32_e64 v25, s[0:1], 0, v8, s[0:1]
	global_load_dwordx4 v[8:11], v[26:27], off
	global_load_dwordx4 v[12:15], v[24:25], off
	global_load_dwordx4 v[16:19], v[26:27], off offset:16
	global_load_dwordx4 v[20:23], v[24:25], off offset:16
	v_cmp_le_i64_e64 s[0:1], s[14:15], v[2:3]
	v_cmp_lt_u64_e64 s[2:3], s[24:25], v[2:3]
	s_or_b64 s[0:1], s[0:1], s[2:3]
	v_add_co_u32_e64 v2, s[6:7], s33, v2
	s_add_u32 s26, s26, s34
	v_addc_co_u32_e64 v3, s[6:7], v3, v1, s[6:7]
	s_addc_u32 s27, s27, 0
	v_add_co_u32_e64 v24, s[6:7], s30, v6
	s_add_u32 s30, s30, s34
	v_mov_b32_e32 v7, s31
	s_addc_u32 s31, s31, 0
	s_add_u32 s28, s28, s34
	s_addc_u32 s29, s29, 0
	s_and_b64 s[0:1], exec, s[0:1]
	v_addc_co_u32_e64 v25, s[6:7], 0, v7, s[6:7]
	s_or_b64 s[22:23], s[0:1], s[22:23]
	s_waitcnt vmcnt(2)
	v_add_f64 v[26:27], v[12:13], -v[8:9]
	v_add_f64 v[28:29], v[14:15], -v[10:11]
	s_waitcnt vmcnt(0)
	v_add_f64 v[30:31], v[20:21], -v[16:17]
	v_add_f64 v[32:33], v[22:23], -v[18:19]
	v_fmac_f64_e32 v[8:9], s[10:11], v[26:27]
	v_fma_f64 v[12:13], -v[4:5], v[26:27], v[12:13]
	v_fmac_f64_e32 v[10:11], s[10:11], v[28:29]
	v_fma_f64 v[14:15], -v[4:5], v[28:29], v[14:15]
	;; [unrolled: 2-line block ×4, first 2 shown]
	v_cndmask_b32_e32 v9, v13, v9, vcc
	v_cndmask_b32_e32 v8, v12, v8, vcc
	;; [unrolled: 1-line block ×8, first 2 shown]
	global_store_dwordx4 v[24:25], v[8:11], off
	global_store_dwordx4 v[24:25], v[12:15], off offset:16
	s_andn2_b64 exec, exec, s[22:23]
	s_cbranch_execnz .LBB12_3
.LBB12_4:
	s_or_b64 exec, exec, s[16:17]
	s_mov_b64 s[2:3], 0
.LBB12_5:
	s_andn2_b64 vcc, exec, s[2:3]
	s_cbranch_vccnz .LBB12_25
; %bb.6:
	v_cmp_lt_i64_e64 s[0:1], s[14:15], 1
	s_and_b64 vcc, exec, s[0:1]
	s_cbranch_vccnz .LBB12_25
; %bb.7:
	s_load_dword s0, s[4:5], 0xc64
	v_mov_b32_e32 v2, 0x10000
	v_mov_b32_e32 v3, 0
	v_cmp_lt_u64_e32 vcc, s[14:15], v[2:3]
	v_lshlrev_b32_e32 v16, 3, v0
	s_waitcnt lgkmcnt(0)
	s_and_b32 s4, s0, 0xffff
	s_and_b64 s[0:1], vcc, exec
	v_mov_b32_e32 v21, s21
	v_add_co_u32_e32 v4, vcc, s20, v16
	v_addc_co_u32_e32 v1, vcc, 0, v21, vcc
	v_mov_b32_e32 v23, s19
	v_add_co_u32_e32 v6, vcc, s18, v16
	v_addc_co_u32_e32 v5, vcc, 0, v23, vcc
	v_mov_b32_e32 v17, 0
	v_mov_b32_e32 v25, s9
	v_add_co_u32_e32 v8, vcc, s8, v16
	v_addc_co_u32_e32 v7, vcc, 0, v25, vcc
	v_mad_u64_u32 v[14:15], s[2:3], s4, 24, v[16:17]
	v_add_co_u32_e32 v10, vcc, s20, v14
	v_addc_co_u32_e32 v9, vcc, v21, v15, vcc
	v_add_co_u32_e32 v12, vcc, s18, v14
	v_addc_co_u32_e32 v11, vcc, v23, v15, vcc
	v_add_co_u32_e32 v14, vcc, s8, v14
	s_mul_i32 s6, s4, 3
	v_addc_co_u32_e32 v13, vcc, v25, v15, vcc
	v_add_co_u32_e32 v27, vcc, s6, v0
	v_addc_co_u32_e64 v44, s[2:3], 0, 0, vcc
	s_cselect_b32 s17, s15, 0
	s_cselect_b32 s16, s14, 0x10000
	s_lshl_b32 s2, s4, 4
	v_add_co_u32_e32 v19, vcc, s2, v16
	v_addc_co_u32_e64 v22, s[2:3], 0, 0, vcc
	v_add_co_u32_e32 v16, vcc, s20, v19
	v_addc_co_u32_e32 v15, vcc, v21, v22, vcc
	v_add_co_u32_e32 v18, vcc, s18, v19
	v_addc_co_u32_e32 v17, vcc, v23, v22, vcc
	v_add_co_u32_e32 v20, vcc, s8, v19
	s_lshl_b32 s5, s4, 1
	v_addc_co_u32_e32 v19, vcc, v25, v22, vcc
	v_add_co_u32_e32 v45, vcc, s5, v0
	v_addc_co_u32_e64 v46, s[2:3], 0, 0, vcc
	v_add_co_u32_e32 v47, vcc, s4, v0
	v_lshlrev_b32_e32 v26, 3, v47
	v_addc_co_u32_e64 v48, s[2:3], 0, 0, vcc
	v_add_co_u32_e32 v22, vcc, s20, v26
	v_addc_co_u32_e32 v21, vcc, 0, v21, vcc
	v_add_co_u32_e32 v24, vcc, s18, v26
	v_addc_co_u32_e32 v23, vcc, 0, v23, vcc
	v_add_co_u32_e32 v26, vcc, s8, v26
	s_mov_b32 s22, 0
	v_cmp_lt_f64_e64 s[0:1], |s[10:11]|, 0.5
	v_add_f64 v[2:3], -s[10:11], 1.0
	s_lshl_b32 s23, s4, 2
	s_lshl_b32 s24, s4, 5
	v_addc_co_u32_e32 v25, vcc, 0, v25, vcc
	s_mov_b64 s[18:19], 0
	s_branch .LBB12_9
.LBB12_8:                               ;   in Loop: Header=BB12_9 Depth=1
	s_or_b64 exec, exec, s[2:3]
	s_add_u32 s18, s18, s23
	s_addc_u32 s19, s19, 0
	s_waitcnt vmcnt(1)
	v_pk_mov_b32 v[28:29], s[14:15], s[14:15] op_sel:[0,1]
	v_cmp_ge_i64_e32 vcc, s[18:19], v[28:29]
	v_mov_b32_e32 v28, 0xffff
	v_mov_b32_e32 v29, 0
	v_cmp_gt_u64_e64 s[2:3], s[18:19], v[28:29]
	s_or_b64 s[2:3], vcc, s[2:3]
	v_mov_b32_e32 v28, s22
	v_add_co_u32_e32 v4, vcc, s24, v4
	v_addc_co_u32_e32 v1, vcc, v1, v28, vcc
	v_add_co_u32_e32 v6, vcc, s24, v6
	v_addc_co_u32_e32 v5, vcc, v5, v28, vcc
	;; [unrolled: 2-line block ×12, first 2 shown]
	s_and_b64 vcc, exec, s[2:3]
	s_cbranch_vccnz .LBB12_25
.LBB12_9:                               ; =>This Inner Loop Header: Depth=1
	v_mov_b32_e32 v29, s19
	v_add_co_u32_e32 v28, vcc, s18, v0
	v_addc_co_u32_e32 v29, vcc, 0, v29, vcc
	v_cmp_gt_u64_e32 vcc, s[16:17], v[28:29]
	v_pk_mov_b32 v[28:29], 0, 0
	v_pk_mov_b32 v[30:31], v[28:29], v[28:29] op_sel:[0,1]
	s_waitcnt vmcnt(0)
	v_pk_mov_b32 v[32:33], v[28:29], v[28:29] op_sel:[0,1]
	s_and_saveexec_b64 s[4:5], vcc
	s_cbranch_execz .LBB12_11
; %bb.10:                               ;   in Loop: Header=BB12_9 Depth=1
	v_mov_b32_e32 v30, s13
	v_add_co_u32_e64 v34, s[2:3], s12, v6
	v_addc_co_u32_e64 v35, s[2:3], v5, v30, s[2:3]
	v_add_co_u32_e64 v36, s[2:3], s12, v4
	v_addc_co_u32_e64 v37, s[2:3], v1, v30, s[2:3]
	global_load_dwordx2 v[30:31], v[36:37], off
	global_load_dwordx2 v[32:33], v[34:35], off
.LBB12_11:                              ;   in Loop: Header=BB12_9 Depth=1
	s_or_b64 exec, exec, s[4:5]
	v_mov_b32_e32 v35, s19
	v_add_co_u32_e64 v34, s[2:3], s18, v47
	v_addc_co_u32_e64 v35, s[2:3], v48, v35, s[2:3]
	v_cmp_gt_u64_e64 s[2:3], s[16:17], v[34:35]
	v_pk_mov_b32 v[36:37], v[28:29], v[28:29] op_sel:[0,1]
	s_and_saveexec_b64 s[6:7], s[2:3]
	s_cbranch_execz .LBB12_13
; %bb.12:                               ;   in Loop: Header=BB12_9 Depth=1
	v_mov_b32_e32 v28, s13
	v_add_co_u32_e64 v34, s[4:5], s12, v24
	v_addc_co_u32_e64 v35, s[4:5], v23, v28, s[4:5]
	v_add_co_u32_e64 v38, s[4:5], s12, v22
	v_addc_co_u32_e64 v39, s[4:5], v21, v28, s[4:5]
	global_load_dwordx2 v[28:29], v[38:39], off
	global_load_dwordx2 v[36:37], v[34:35], off
.LBB12_13:                              ;   in Loop: Header=BB12_9 Depth=1
	s_or_b64 exec, exec, s[6:7]
	v_mov_b32_e32 v35, s19
	v_add_co_u32_e64 v34, s[4:5], s18, v45
	v_addc_co_u32_e64 v35, s[4:5], v46, v35, s[4:5]
	v_cmp_gt_u64_e64 s[4:5], s[16:17], v[34:35]
	v_pk_mov_b32 v[34:35], 0, 0
	v_pk_mov_b32 v[38:39], v[34:35], v[34:35] op_sel:[0,1]
	v_pk_mov_b32 v[40:41], v[34:35], v[34:35] op_sel:[0,1]
	s_and_saveexec_b64 s[8:9], s[4:5]
	s_cbranch_execz .LBB12_15
; %bb.14:                               ;   in Loop: Header=BB12_9 Depth=1
	v_mov_b32_e32 v38, s13
	v_add_co_u32_e64 v42, s[6:7], s12, v18
	v_addc_co_u32_e64 v43, s[6:7], v17, v38, s[6:7]
	v_add_co_u32_e64 v50, s[6:7], s12, v16
	v_addc_co_u32_e64 v51, s[6:7], v15, v38, s[6:7]
	global_load_dwordx2 v[38:39], v[50:51], off
	global_load_dwordx2 v[40:41], v[42:43], off
.LBB12_15:                              ;   in Loop: Header=BB12_9 Depth=1
	s_or_b64 exec, exec, s[8:9]
	v_mov_b32_e32 v43, s19
	v_add_co_u32_e64 v42, s[6:7], s18, v27
	v_addc_co_u32_e64 v43, s[6:7], v44, v43, s[6:7]
	v_cmp_gt_u64_e64 s[6:7], s[16:17], v[42:43]
	v_pk_mov_b32 v[42:43], v[34:35], v[34:35] op_sel:[0,1]
	s_and_saveexec_b64 s[20:21], s[6:7]
	s_cbranch_execnz .LBB12_20
; %bb.16:                               ;   in Loop: Header=BB12_9 Depth=1
	s_or_b64 exec, exec, s[20:21]
	s_and_saveexec_b64 s[8:9], vcc
	s_cbranch_execnz .LBB12_21
.LBB12_17:                              ;   in Loop: Header=BB12_9 Depth=1
	s_or_b64 exec, exec, s[8:9]
	s_and_saveexec_b64 s[8:9], s[2:3]
	s_cbranch_execnz .LBB12_22
.LBB12_18:                              ;   in Loop: Header=BB12_9 Depth=1
	s_or_b64 exec, exec, s[8:9]
	s_and_saveexec_b64 s[2:3], s[4:5]
	s_cbranch_execnz .LBB12_23
.LBB12_19:                              ;   in Loop: Header=BB12_9 Depth=1
	s_or_b64 exec, exec, s[2:3]
	s_and_saveexec_b64 s[2:3], s[6:7]
	s_cbranch_execz .LBB12_8
	s_branch .LBB12_24
.LBB12_20:                              ;   in Loop: Header=BB12_9 Depth=1
	v_mov_b32_e32 v34, s13
	v_add_co_u32_e64 v50, s[8:9], s12, v12
	v_addc_co_u32_e64 v51, s[8:9], v11, v34, s[8:9]
	v_add_co_u32_e64 v52, s[8:9], s12, v10
	v_addc_co_u32_e64 v53, s[8:9], v9, v34, s[8:9]
	global_load_dwordx2 v[34:35], v[52:53], off
	global_load_dwordx2 v[42:43], v[50:51], off
	s_or_b64 exec, exec, s[20:21]
	s_and_saveexec_b64 s[8:9], vcc
	s_cbranch_execz .LBB12_17
.LBB12_21:                              ;   in Loop: Header=BB12_9 Depth=1
	s_waitcnt vmcnt(0)
	v_add_f64 v[52:53], v[32:33], -v[30:31]
	v_mov_b32_e32 v49, s13
	v_add_co_u32_e32 v50, vcc, s12, v8
	v_fmac_f64_e32 v[30:31], s[10:11], v[52:53]
	v_fma_f64 v[32:33], -v[2:3], v[52:53], v[32:33]
	v_addc_co_u32_e32 v51, vcc, v7, v49, vcc
	v_cndmask_b32_e64 v31, v33, v31, s[0:1]
	v_cndmask_b32_e64 v30, v32, v30, s[0:1]
	global_store_dwordx2 v[50:51], v[30:31], off
	s_or_b64 exec, exec, s[8:9]
	s_and_saveexec_b64 s[8:9], s[2:3]
	s_cbranch_execz .LBB12_18
.LBB12_22:                              ;   in Loop: Header=BB12_9 Depth=1
	s_waitcnt vmcnt(0)
	v_add_f64 v[30:31], v[36:37], -v[28:29]
	v_fmac_f64_e32 v[28:29], s[10:11], v[30:31]
	v_fma_f64 v[30:31], -v[2:3], v[30:31], v[36:37]
	v_cndmask_b32_e64 v29, v31, v29, s[0:1]
	v_cndmask_b32_e64 v28, v30, v28, s[0:1]
	v_mov_b32_e32 v31, s13
	v_add_co_u32_e32 v30, vcc, s12, v26
	v_addc_co_u32_e32 v31, vcc, v25, v31, vcc
	global_store_dwordx2 v[30:31], v[28:29], off
	s_or_b64 exec, exec, s[8:9]
	s_and_saveexec_b64 s[2:3], s[4:5]
	s_cbranch_execz .LBB12_19
.LBB12_23:                              ;   in Loop: Header=BB12_9 Depth=1
	s_waitcnt vmcnt(0)
	v_add_f64 v[28:29], v[40:41], -v[38:39]
	v_fmac_f64_e32 v[38:39], s[10:11], v[28:29]
	v_fma_f64 v[28:29], -v[2:3], v[28:29], v[40:41]
	v_mov_b32_e32 v31, s13
	v_add_co_u32_e32 v30, vcc, s12, v20
	v_cndmask_b32_e64 v29, v29, v39, s[0:1]
	v_cndmask_b32_e64 v28, v28, v38, s[0:1]
	v_addc_co_u32_e32 v31, vcc, v19, v31, vcc
	global_store_dwordx2 v[30:31], v[28:29], off
	s_or_b64 exec, exec, s[2:3]
	s_and_saveexec_b64 s[2:3], s[6:7]
	s_cbranch_execz .LBB12_8
.LBB12_24:                              ;   in Loop: Header=BB12_9 Depth=1
	s_waitcnt vmcnt(0)
	v_add_f64 v[28:29], v[42:43], -v[34:35]
	v_fmac_f64_e32 v[34:35], s[10:11], v[28:29]
	v_fma_f64 v[28:29], -v[2:3], v[28:29], v[42:43]
	v_mov_b32_e32 v31, s13
	v_add_co_u32_e32 v30, vcc, s12, v14
	v_cndmask_b32_e64 v29, v29, v35, s[0:1]
	v_cndmask_b32_e64 v28, v28, v34, s[0:1]
	v_addc_co_u32_e32 v31, vcc, v13, v31, vcc
	global_store_dwordx2 v[30:31], v[28:29], off
	s_branch .LBB12_8
.LBB12_25:
	s_endpgm
	.section	.rodata,"a",@progbits
	.p2align	6, 0x0
	.amdhsa_kernel _ZN2at6native12_GLOBAL__N_125multi_tensor_apply_kernelINS1_18TensorListMetadataILi3EEENS1_22TernaryOpScalarFunctorIdLi3ELi2ELi2EEEJNS0_11LerpFunctorIdEEdEEEvT_T0_DpT1_
		.amdhsa_group_segment_fixed_size 0
		.amdhsa_private_segment_fixed_size 0
		.amdhsa_kernarg_size 3416
		.amdhsa_user_sgpr_count 6
		.amdhsa_user_sgpr_private_segment_buffer 1
		.amdhsa_user_sgpr_dispatch_ptr 0
		.amdhsa_user_sgpr_queue_ptr 0
		.amdhsa_user_sgpr_kernarg_segment_ptr 1
		.amdhsa_user_sgpr_dispatch_id 0
		.amdhsa_user_sgpr_flat_scratch_init 0
		.amdhsa_user_sgpr_kernarg_preload_length 0
		.amdhsa_user_sgpr_kernarg_preload_offset 0
		.amdhsa_user_sgpr_private_segment_size 0
		.amdhsa_uses_dynamic_stack 0
		.amdhsa_system_sgpr_private_segment_wavefront_offset 0
		.amdhsa_system_sgpr_workgroup_id_x 1
		.amdhsa_system_sgpr_workgroup_id_y 0
		.amdhsa_system_sgpr_workgroup_id_z 0
		.amdhsa_system_sgpr_workgroup_info 0
		.amdhsa_system_vgpr_workitem_id 0
		.amdhsa_next_free_vgpr 54
		.amdhsa_next_free_sgpr 35
		.amdhsa_accum_offset 56
		.amdhsa_reserve_vcc 1
		.amdhsa_reserve_flat_scratch 0
		.amdhsa_float_round_mode_32 0
		.amdhsa_float_round_mode_16_64 0
		.amdhsa_float_denorm_mode_32 3
		.amdhsa_float_denorm_mode_16_64 3
		.amdhsa_dx10_clamp 1
		.amdhsa_ieee_mode 1
		.amdhsa_fp16_overflow 0
		.amdhsa_tg_split 0
		.amdhsa_exception_fp_ieee_invalid_op 0
		.amdhsa_exception_fp_denorm_src 0
		.amdhsa_exception_fp_ieee_div_zero 0
		.amdhsa_exception_fp_ieee_overflow 0
		.amdhsa_exception_fp_ieee_underflow 0
		.amdhsa_exception_fp_ieee_inexact 0
		.amdhsa_exception_int_div_zero 0
	.end_amdhsa_kernel
	.section	.text._ZN2at6native12_GLOBAL__N_125multi_tensor_apply_kernelINS1_18TensorListMetadataILi3EEENS1_22TernaryOpScalarFunctorIdLi3ELi2ELi2EEEJNS0_11LerpFunctorIdEEdEEEvT_T0_DpT1_,"axG",@progbits,_ZN2at6native12_GLOBAL__N_125multi_tensor_apply_kernelINS1_18TensorListMetadataILi3EEENS1_22TernaryOpScalarFunctorIdLi3ELi2ELi2EEEJNS0_11LerpFunctorIdEEdEEEvT_T0_DpT1_,comdat
.Lfunc_end12:
	.size	_ZN2at6native12_GLOBAL__N_125multi_tensor_apply_kernelINS1_18TensorListMetadataILi3EEENS1_22TernaryOpScalarFunctorIdLi3ELi2ELi2EEEJNS0_11LerpFunctorIdEEdEEEvT_T0_DpT1_, .Lfunc_end12-_ZN2at6native12_GLOBAL__N_125multi_tensor_apply_kernelINS1_18TensorListMetadataILi3EEENS1_22TernaryOpScalarFunctorIdLi3ELi2ELi2EEEJNS0_11LerpFunctorIdEEdEEEvT_T0_DpT1_
                                        ; -- End function
	.section	.AMDGPU.csdata,"",@progbits
; Kernel info:
; codeLenInByte = 1840
; NumSgprs: 39
; NumVgprs: 54
; NumAgprs: 0
; TotalNumVgprs: 54
; ScratchSize: 0
; MemoryBound: 0
; FloatMode: 240
; IeeeMode: 1
; LDSByteSize: 0 bytes/workgroup (compile time only)
; SGPRBlocks: 4
; VGPRBlocks: 6
; NumSGPRsForWavesPerEU: 39
; NumVGPRsForWavesPerEU: 54
; AccumOffset: 56
; Occupancy: 8
; WaveLimiterHint : 0
; COMPUTE_PGM_RSRC2:SCRATCH_EN: 0
; COMPUTE_PGM_RSRC2:USER_SGPR: 6
; COMPUTE_PGM_RSRC2:TRAP_HANDLER: 0
; COMPUTE_PGM_RSRC2:TGID_X_EN: 1
; COMPUTE_PGM_RSRC2:TGID_Y_EN: 0
; COMPUTE_PGM_RSRC2:TGID_Z_EN: 0
; COMPUTE_PGM_RSRC2:TIDIG_COMP_CNT: 0
; COMPUTE_PGM_RSRC3_GFX90A:ACCUM_OFFSET: 13
; COMPUTE_PGM_RSRC3_GFX90A:TG_SPLIT: 0
	.section	.text._ZN2at6native12_GLOBAL__N_125multi_tensor_apply_kernelINS1_18TensorListMetadataILi3EEENS1_22TernaryOpScalarFunctorIfLi3ELi2ELi2EEEJNS0_11LerpFunctorIfEEfEEEvT_T0_DpT1_,"axG",@progbits,_ZN2at6native12_GLOBAL__N_125multi_tensor_apply_kernelINS1_18TensorListMetadataILi3EEENS1_22TernaryOpScalarFunctorIfLi3ELi2ELi2EEEJNS0_11LerpFunctorIfEEfEEEvT_T0_DpT1_,comdat
	.globl	_ZN2at6native12_GLOBAL__N_125multi_tensor_apply_kernelINS1_18TensorListMetadataILi3EEENS1_22TernaryOpScalarFunctorIfLi3ELi2ELi2EEEJNS0_11LerpFunctorIfEEfEEEvT_T0_DpT1_ ; -- Begin function _ZN2at6native12_GLOBAL__N_125multi_tensor_apply_kernelINS1_18TensorListMetadataILi3EEENS1_22TernaryOpScalarFunctorIfLi3ELi2ELi2EEEJNS0_11LerpFunctorIfEEfEEEvT_T0_DpT1_
	.p2align	8
	.type	_ZN2at6native12_GLOBAL__N_125multi_tensor_apply_kernelINS1_18TensorListMetadataILi3EEENS1_22TernaryOpScalarFunctorIfLi3ELi2ELi2EEEJNS0_11LerpFunctorIfEEfEEEvT_T0_DpT1_,@function
_ZN2at6native12_GLOBAL__N_125multi_tensor_apply_kernelINS1_18TensorListMetadataILi3EEENS1_22TernaryOpScalarFunctorIfLi3ELi2ELi2EEEJNS0_11LerpFunctorIfEEfEEEvT_T0_DpT1_: ; @_ZN2at6native12_GLOBAL__N_125multi_tensor_apply_kernelINS1_18TensorListMetadataILi3EEENS1_22TernaryOpScalarFunctorIfLi3ELi2ELi2EEEJNS0_11LerpFunctorIfEEfEEEvT_T0_DpT1_
; %bb.0:
	v_mov_b32_e32 v1, s6
	global_load_ubyte v1, v1, s[4:5] offset:1536
	s_load_dword s10, s[4:5], 0xc4c
	s_add_u32 s0, s4, s6
	s_mul_hi_u32 s2, s6, 3
	s_mul_i32 s6, s6, 3
	s_addc_u32 s7, s5, 0
	s_add_u32 s6, s0, s6
	s_addc_u32 s7, s7, s2
	s_load_dword s6, s[6:7], 0x740
	s_mov_b32 s3, 0
	s_mov_b32 s1, s3
	s_waitcnt lgkmcnt(0)
	s_ashr_i32 s7, s6, 31
	s_lshl_b64 s[12:13], s[6:7], 18
	s_waitcnt vmcnt(0)
	v_readfirstlane_b32 s0, v1
	s_lshl_b32 s0, s0, 3
	s_load_dwordx2 s[20:21], s[4:5], s0 offset:0x0
	s_load_dwordx2 s[18:19], s[4:5], s0 offset:0x180
	;; [unrolled: 1-line block ×4, first 2 shown]
	s_waitcnt lgkmcnt(0)
	s_and_b32 s2, s20, 15
	s_add_u32 s0, s18, s12
	s_or_b32 s0, s8, s0
	s_and_b32 s0, s0, 15
	s_cmp_lg_u32 s0, 0
	s_cselect_b64 s[22:23], -1, 0
	s_lshl_b64 s[6:7], s[6:7], 16
	s_sub_u32 s14, s16, s6
	s_subb_u32 s15, s17, s7
	s_and_b32 s0, s16, 3
	s_or_b64 s[0:1], s[2:3], s[0:1]
	s_cmp_lg_u64 s[0:1], 0
	s_cselect_b64 s[0:1], -1, 0
	s_or_b64 s[0:1], s[22:23], s[0:1]
	s_andn2_b64 vcc, exec, s[0:1]
	s_mov_b64 s[0:1], -1
	s_cbranch_vccz .LBB13_5
; %bb.1:
	v_mov_b32_e32 v3, 0
	v_lshlrev_b32_e32 v2, 2, v0
	v_cmp_gt_i64_e32 vcc, s[14:15], v[2:3]
	s_and_saveexec_b64 s[16:17], vcc
	s_cbranch_execz .LBB13_4
; %bb.2:
	s_load_dword s0, s[4:5], 0xc5c
	v_sub_f32_e64 v4, 1.0, s10
	v_lshlrev_b32_e32 v1, 4, v0
	v_mov_b32_e32 v2, s13
	v_xor_b32_e32 v8, 0x80000000, v4
	s_waitcnt lgkmcnt(0)
	s_and_b32 s2, s0, 0xffff
	v_add_co_u32_e64 v6, s[0:1], s12, v1
	v_cmp_lt_f32_e64 vcc, |s10|, 0.5
	s_mov_b32 s11, s10
	s_mov_b32 s22, s10
	;; [unrolled: 1-line block ×3, first 2 shown]
	v_mov_b32_e32 v5, v4
	v_addc_co_u32_e64 v1, s[0:1], 0, v2, s[0:1]
	s_lshl_b32 s28, s2, 4
	v_add_lshl_u32 v2, v0, s2, 2
	s_lshl_b32 s29, s2, 2
	s_mov_b64 s[24:25], 0
	v_mov_b32_e32 v7, s21
	v_mov_b32_e32 v10, s19
	;; [unrolled: 1-line block ×4, first 2 shown]
	s_mov_b64 s[26:27], 0xffff
	v_mov_b32_e32 v12, s3
	v_mov_b32_e32 v13, s3
.LBB13_3:                               ; =>This Inner Loop Header: Depth=1
	v_add_co_u32_e64 v22, s[0:1], s20, v6
	v_addc_co_u32_e64 v23, s[0:1], v7, v1, s[0:1]
	v_add_co_u32_e64 v24, s[0:1], s18, v6
	v_addc_co_u32_e64 v25, s[0:1], v10, v1, s[0:1]
	global_load_dwordx4 v[14:17], v[22:23], off
	global_load_dwordx4 v[18:21], v[24:25], off
	v_add_co_u32_e64 v22, s[0:1], s8, v6
	v_addc_co_u32_e64 v23, s[0:1], v11, v1, s[0:1]
	v_cmp_le_i64_e64 s[0:1], s[14:15], v[2:3]
	v_cmp_lt_u64_e64 s[2:3], s[26:27], v[2:3]
	v_add_co_u32_e64 v6, s[6:7], s28, v6
	v_addc_co_u32_e64 v1, s[6:7], v1, v12, s[6:7]
	s_or_b64 s[0:1], s[0:1], s[2:3]
	v_add_co_u32_e64 v2, s[6:7], s29, v2
	s_and_b64 s[0:1], exec, s[0:1]
	v_addc_co_u32_e64 v3, s[6:7], v3, v13, s[6:7]
	s_or_b64 s[24:25], s[0:1], s[24:25]
	s_waitcnt vmcnt(0)
	v_sub_f32_e32 v25, v21, v17
	v_sub_f32_e32 v24, v20, v16
	v_sub_f32_e32 v27, v19, v15
	v_sub_f32_e32 v26, v18, v14
	v_pk_fma_f32 v[14:15], v[26:27], s[10:11], v[14:15]
	v_pk_fma_f32 v[16:17], v[24:25], s[22:23], v[16:17]
	v_pk_fma_f32 v[18:19], v[4:5], v[26:27], v[18:19] neg_lo:[1,0,0] neg_hi:[1,0,0]
	v_pk_fma_f32 v[20:21], v[8:9], v[24:25], v[20:21]
	v_cndmask_b32_e32 v17, v21, v17, vcc
	v_cndmask_b32_e32 v16, v20, v16, vcc
	;; [unrolled: 1-line block ×4, first 2 shown]
	global_store_dwordx4 v[22:23], v[14:17], off
	s_andn2_b64 exec, exec, s[24:25]
	s_cbranch_execnz .LBB13_3
.LBB13_4:
	s_or_b64 exec, exec, s[16:17]
	s_mov_b64 s[0:1], 0
.LBB13_5:
	s_andn2_b64 vcc, exec, s[0:1]
	s_cbranch_vccnz .LBB13_25
; %bb.6:
	v_cmp_lt_i64_e64 s[0:1], s[14:15], 1
	s_and_b64 vcc, exec, s[0:1]
	s_cbranch_vccnz .LBB13_25
; %bb.7:
	s_load_dword s0, s[4:5], 0xc5c
	v_mov_b32_e32 v2, 0x10000
	v_mov_b32_e32 v3, 0
	v_cmp_lt_u64_e32 vcc, s[14:15], v[2:3]
	v_lshlrev_b32_e32 v14, 2, v0
	s_waitcnt lgkmcnt(0)
	s_and_b32 s4, s0, 0xffff
	s_and_b64 s[0:1], vcc, exec
	v_mov_b32_e32 v19, s21
	v_add_co_u32_e32 v2, vcc, s20, v14
	v_addc_co_u32_e32 v1, vcc, 0, v19, vcc
	v_mov_b32_e32 v21, s19
	v_add_co_u32_e32 v4, vcc, s18, v14
	v_addc_co_u32_e32 v3, vcc, 0, v21, vcc
	v_mov_b32_e32 v15, 0
	v_mov_b32_e32 v23, s9
	v_add_co_u32_e32 v6, vcc, s8, v14
	v_addc_co_u32_e32 v5, vcc, 0, v23, vcc
	v_mad_u64_u32 v[12:13], s[2:3], s4, 12, v[14:15]
	v_add_co_u32_e32 v8, vcc, s20, v12
	v_addc_co_u32_e32 v7, vcc, v19, v13, vcc
	v_add_co_u32_e32 v10, vcc, s18, v12
	v_addc_co_u32_e32 v9, vcc, v21, v13, vcc
	v_add_co_u32_e32 v12, vcc, s8, v12
	s_mul_i32 s6, s4, 3
	v_addc_co_u32_e32 v11, vcc, v23, v13, vcc
	v_add_co_u32_e32 v26, vcc, s6, v0
	v_addc_co_u32_e64 v27, s[2:3], 0, 0, vcc
	s_cselect_b32 s17, s15, 0
	s_cselect_b32 s16, s14, 0x10000
	s_lshl_b32 s2, s4, 3
	v_add_co_u32_e32 v17, vcc, s2, v14
	v_addc_co_u32_e64 v20, s[2:3], 0, 0, vcc
	v_add_co_u32_e32 v14, vcc, s20, v17
	v_addc_co_u32_e32 v13, vcc, v19, v20, vcc
	v_add_co_u32_e32 v16, vcc, s18, v17
	v_addc_co_u32_e32 v15, vcc, v21, v20, vcc
	v_add_co_u32_e32 v18, vcc, s8, v17
	s_lshl_b32 s5, s4, 1
	v_addc_co_u32_e32 v17, vcc, v23, v20, vcc
	v_add_co_u32_e32 v28, vcc, s5, v0
	v_addc_co_u32_e64 v29, s[2:3], 0, 0, vcc
	v_add_co_u32_e32 v30, vcc, s4, v0
	v_lshlrev_b32_e32 v24, 2, v30
	v_addc_co_u32_e64 v31, s[2:3], 0, 0, vcc
	v_add_co_u32_e32 v20, vcc, s20, v24
	v_addc_co_u32_e32 v19, vcc, 0, v19, vcc
	v_add_co_u32_e32 v22, vcc, s18, v24
	v_addc_co_u32_e32 v21, vcc, 0, v21, vcc
	v_add_co_u32_e32 v24, vcc, s8, v24
	s_mov_b32 s11, 0
	v_cmp_lt_f32_e64 s[0:1], |s10|, 0.5
	v_sub_f32_e64 v25, 1.0, s10
	s_lshl_b32 s22, s4, 2
	s_lshl_b32 s23, s4, 4
	v_addc_co_u32_e32 v23, vcc, 0, v23, vcc
	s_mov_b64 s[18:19], 0
	s_branch .LBB13_9
.LBB13_8:                               ;   in Loop: Header=BB13_9 Depth=1
	s_or_b64 exec, exec, s[2:3]
	s_add_u32 s18, s18, s22
	s_addc_u32 s19, s19, 0
	s_waitcnt vmcnt(1)
	v_pk_mov_b32 v[32:33], s[14:15], s[14:15] op_sel:[0,1]
	v_cmp_ge_i64_e32 vcc, s[18:19], v[32:33]
	v_mov_b32_e32 v32, 0xffff
	v_mov_b32_e32 v33, 0
	v_cmp_gt_u64_e64 s[2:3], s[18:19], v[32:33]
	s_or_b64 s[2:3], vcc, s[2:3]
	v_mov_b32_e32 v32, s11
	v_add_co_u32_e32 v2, vcc, s23, v2
	v_addc_co_u32_e32 v1, vcc, v1, v32, vcc
	v_add_co_u32_e32 v4, vcc, s23, v4
	v_addc_co_u32_e32 v3, vcc, v3, v32, vcc
	;; [unrolled: 2-line block ×12, first 2 shown]
	s_and_b64 vcc, exec, s[2:3]
	s_cbranch_vccnz .LBB13_25
.LBB13_9:                               ; =>This Inner Loop Header: Depth=1
	v_mov_b32_e32 v33, s19
	v_add_co_u32_e32 v32, vcc, s18, v0
	v_addc_co_u32_e32 v33, vcc, 0, v33, vcc
	v_cmp_gt_u64_e32 vcc, s[16:17], v[32:33]
	v_mov_b32_e32 v32, 0
	s_waitcnt vmcnt(0)
	v_mov_b32_e32 v34, 0
	s_and_saveexec_b64 s[4:5], vcc
	s_cbranch_execz .LBB13_11
; %bb.10:                               ;   in Loop: Header=BB13_9 Depth=1
	v_mov_b32_e32 v32, s13
	v_add_co_u32_e64 v36, s[2:3], s12, v4
	v_addc_co_u32_e64 v37, s[2:3], v3, v32, s[2:3]
	v_add_co_u32_e64 v38, s[2:3], s12, v2
	v_addc_co_u32_e64 v39, s[2:3], v1, v32, s[2:3]
	global_load_dword v32, v[38:39], off
	global_load_dword v34, v[36:37], off
.LBB13_11:                              ;   in Loop: Header=BB13_9 Depth=1
	s_or_b64 exec, exec, s[4:5]
	v_mov_b32_e32 v33, s19
	v_add_co_u32_e64 v36, s[2:3], s18, v30
	v_addc_co_u32_e64 v37, s[2:3], v31, v33, s[2:3]
	v_cmp_gt_u64_e64 s[2:3], s[16:17], v[36:37]
	v_mov_b32_e32 v33, 0
	v_mov_b32_e32 v35, 0
	v_mov_b32_e32 v36, 0
	s_and_saveexec_b64 s[6:7], s[2:3]
	s_cbranch_execz .LBB13_13
; %bb.12:                               ;   in Loop: Header=BB13_9 Depth=1
	v_mov_b32_e32 v35, s13
	v_add_co_u32_e64 v38, s[4:5], s12, v22
	v_addc_co_u32_e64 v39, s[4:5], v21, v35, s[4:5]
	v_add_co_u32_e64 v40, s[4:5], s12, v20
	v_addc_co_u32_e64 v41, s[4:5], v19, v35, s[4:5]
	global_load_dword v35, v[40:41], off
	global_load_dword v36, v[38:39], off
.LBB13_13:                              ;   in Loop: Header=BB13_9 Depth=1
	s_or_b64 exec, exec, s[6:7]
	v_mov_b32_e32 v37, s19
	v_add_co_u32_e64 v38, s[4:5], s18, v28
	v_addc_co_u32_e64 v39, s[4:5], v29, v37, s[4:5]
	v_cmp_gt_u64_e64 s[4:5], s[16:17], v[38:39]
	v_mov_b32_e32 v37, 0
	s_and_saveexec_b64 s[8:9], s[4:5]
	s_cbranch_execz .LBB13_15
; %bb.14:                               ;   in Loop: Header=BB13_9 Depth=1
	v_mov_b32_e32 v33, s13
	v_add_co_u32_e64 v38, s[6:7], s12, v16
	v_addc_co_u32_e64 v39, s[6:7], v15, v33, s[6:7]
	v_add_co_u32_e64 v40, s[6:7], s12, v14
	v_addc_co_u32_e64 v41, s[6:7], v13, v33, s[6:7]
	global_load_dword v33, v[40:41], off
	global_load_dword v37, v[38:39], off
.LBB13_15:                              ;   in Loop: Header=BB13_9 Depth=1
	s_or_b64 exec, exec, s[8:9]
	v_mov_b32_e32 v39, s19
	v_add_co_u32_e64 v38, s[6:7], s18, v26
	v_addc_co_u32_e64 v39, s[6:7], v27, v39, s[6:7]
	v_cmp_gt_u64_e64 s[6:7], s[16:17], v[38:39]
	v_mov_b32_e32 v38, 0
	v_mov_b32_e32 v39, 0
	s_and_saveexec_b64 s[20:21], s[6:7]
	s_cbranch_execnz .LBB13_20
; %bb.16:                               ;   in Loop: Header=BB13_9 Depth=1
	s_or_b64 exec, exec, s[20:21]
	s_and_saveexec_b64 s[8:9], vcc
	s_cbranch_execnz .LBB13_21
.LBB13_17:                              ;   in Loop: Header=BB13_9 Depth=1
	s_or_b64 exec, exec, s[8:9]
	s_and_saveexec_b64 s[8:9], s[2:3]
	s_cbranch_execnz .LBB13_22
.LBB13_18:                              ;   in Loop: Header=BB13_9 Depth=1
	s_or_b64 exec, exec, s[8:9]
	s_and_saveexec_b64 s[2:3], s[4:5]
	s_cbranch_execnz .LBB13_23
.LBB13_19:                              ;   in Loop: Header=BB13_9 Depth=1
	s_or_b64 exec, exec, s[2:3]
	s_and_saveexec_b64 s[2:3], s[6:7]
	s_cbranch_execz .LBB13_8
	s_branch .LBB13_24
.LBB13_20:                              ;   in Loop: Header=BB13_9 Depth=1
	v_mov_b32_e32 v38, s13
	v_add_co_u32_e64 v40, s[8:9], s12, v10
	v_addc_co_u32_e64 v41, s[8:9], v9, v38, s[8:9]
	v_add_co_u32_e64 v42, s[8:9], s12, v8
	v_addc_co_u32_e64 v43, s[8:9], v7, v38, s[8:9]
	global_load_dword v38, v[42:43], off
	global_load_dword v39, v[40:41], off
	s_or_b64 exec, exec, s[20:21]
	s_and_saveexec_b64 s[8:9], vcc
	s_cbranch_execz .LBB13_17
.LBB13_21:                              ;   in Loop: Header=BB13_9 Depth=1
	s_waitcnt vmcnt(0)
	v_sub_f32_e32 v42, v34, v32
	v_mov_b32_e32 v41, s13
	v_add_co_u32_e32 v40, vcc, s12, v6
	v_fmac_f32_e32 v32, s10, v42
	v_fma_f32 v34, -v25, v42, v34
	v_addc_co_u32_e32 v41, vcc, v5, v41, vcc
	v_cndmask_b32_e64 v32, v34, v32, s[0:1]
	global_store_dword v[40:41], v32, off
	s_or_b64 exec, exec, s[8:9]
	s_and_saveexec_b64 s[8:9], s[2:3]
	s_cbranch_execz .LBB13_18
.LBB13_22:                              ;   in Loop: Header=BB13_9 Depth=1
	s_waitcnt vmcnt(0)
	v_sub_f32_e32 v32, v36, v35
	v_fmac_f32_e32 v35, s10, v32
	v_fma_f32 v32, -v25, v32, v36
	v_cndmask_b32_e64 v32, v32, v35, s[0:1]
	v_mov_b32_e32 v35, s13
	v_add_co_u32_e32 v34, vcc, s12, v24
	v_addc_co_u32_e32 v35, vcc, v23, v35, vcc
	global_store_dword v[34:35], v32, off
	s_or_b64 exec, exec, s[8:9]
	s_and_saveexec_b64 s[2:3], s[4:5]
	s_cbranch_execz .LBB13_19
.LBB13_23:                              ;   in Loop: Header=BB13_9 Depth=1
	s_waitcnt vmcnt(0)
	v_sub_f32_e32 v32, v37, v33
	v_fmac_f32_e32 v33, s10, v32
	v_fma_f32 v32, -v25, v32, v37
	v_cndmask_b32_e64 v34, v32, v33, s[0:1]
	v_mov_b32_e32 v33, s13
	v_add_co_u32_e32 v32, vcc, s12, v18
	v_addc_co_u32_e32 v33, vcc, v17, v33, vcc
	global_store_dword v[32:33], v34, off
	s_or_b64 exec, exec, s[2:3]
	s_and_saveexec_b64 s[2:3], s[6:7]
	s_cbranch_execz .LBB13_8
.LBB13_24:                              ;   in Loop: Header=BB13_9 Depth=1
	s_waitcnt vmcnt(0)
	v_sub_f32_e32 v32, v39, v38
	v_fmac_f32_e32 v38, s10, v32
	v_fma_f32 v32, -v25, v32, v39
	v_cndmask_b32_e64 v34, v32, v38, s[0:1]
	v_mov_b32_e32 v33, s13
	v_add_co_u32_e32 v32, vcc, s12, v12
	v_addc_co_u32_e32 v33, vcc, v11, v33, vcc
	global_store_dword v[32:33], v34, off
	s_branch .LBB13_8
.LBB13_25:
	s_endpgm
	.section	.rodata,"a",@progbits
	.p2align	6, 0x0
	.amdhsa_kernel _ZN2at6native12_GLOBAL__N_125multi_tensor_apply_kernelINS1_18TensorListMetadataILi3EEENS1_22TernaryOpScalarFunctorIfLi3ELi2ELi2EEEJNS0_11LerpFunctorIfEEfEEEvT_T0_DpT1_
		.amdhsa_group_segment_fixed_size 0
		.amdhsa_private_segment_fixed_size 0
		.amdhsa_kernarg_size 3408
		.amdhsa_user_sgpr_count 6
		.amdhsa_user_sgpr_private_segment_buffer 1
		.amdhsa_user_sgpr_dispatch_ptr 0
		.amdhsa_user_sgpr_queue_ptr 0
		.amdhsa_user_sgpr_kernarg_segment_ptr 1
		.amdhsa_user_sgpr_dispatch_id 0
		.amdhsa_user_sgpr_flat_scratch_init 0
		.amdhsa_user_sgpr_kernarg_preload_length 0
		.amdhsa_user_sgpr_kernarg_preload_offset 0
		.amdhsa_user_sgpr_private_segment_size 0
		.amdhsa_uses_dynamic_stack 0
		.amdhsa_system_sgpr_private_segment_wavefront_offset 0
		.amdhsa_system_sgpr_workgroup_id_x 1
		.amdhsa_system_sgpr_workgroup_id_y 0
		.amdhsa_system_sgpr_workgroup_id_z 0
		.amdhsa_system_sgpr_workgroup_info 0
		.amdhsa_system_vgpr_workitem_id 0
		.amdhsa_next_free_vgpr 44
		.amdhsa_next_free_sgpr 30
		.amdhsa_accum_offset 44
		.amdhsa_reserve_vcc 1
		.amdhsa_reserve_flat_scratch 0
		.amdhsa_float_round_mode_32 0
		.amdhsa_float_round_mode_16_64 0
		.amdhsa_float_denorm_mode_32 3
		.amdhsa_float_denorm_mode_16_64 3
		.amdhsa_dx10_clamp 1
		.amdhsa_ieee_mode 1
		.amdhsa_fp16_overflow 0
		.amdhsa_tg_split 0
		.amdhsa_exception_fp_ieee_invalid_op 0
		.amdhsa_exception_fp_denorm_src 0
		.amdhsa_exception_fp_ieee_div_zero 0
		.amdhsa_exception_fp_ieee_overflow 0
		.amdhsa_exception_fp_ieee_underflow 0
		.amdhsa_exception_fp_ieee_inexact 0
		.amdhsa_exception_int_div_zero 0
	.end_amdhsa_kernel
	.section	.text._ZN2at6native12_GLOBAL__N_125multi_tensor_apply_kernelINS1_18TensorListMetadataILi3EEENS1_22TernaryOpScalarFunctorIfLi3ELi2ELi2EEEJNS0_11LerpFunctorIfEEfEEEvT_T0_DpT1_,"axG",@progbits,_ZN2at6native12_GLOBAL__N_125multi_tensor_apply_kernelINS1_18TensorListMetadataILi3EEENS1_22TernaryOpScalarFunctorIfLi3ELi2ELi2EEEJNS0_11LerpFunctorIfEEfEEEvT_T0_DpT1_,comdat
.Lfunc_end13:
	.size	_ZN2at6native12_GLOBAL__N_125multi_tensor_apply_kernelINS1_18TensorListMetadataILi3EEENS1_22TernaryOpScalarFunctorIfLi3ELi2ELi2EEEJNS0_11LerpFunctorIfEEfEEEvT_T0_DpT1_, .Lfunc_end13-_ZN2at6native12_GLOBAL__N_125multi_tensor_apply_kernelINS1_18TensorListMetadataILi3EEENS1_22TernaryOpScalarFunctorIfLi3ELi2ELi2EEEJNS0_11LerpFunctorIfEEfEEEvT_T0_DpT1_
                                        ; -- End function
	.section	.AMDGPU.csdata,"",@progbits
; Kernel info:
; codeLenInByte = 1708
; NumSgprs: 34
; NumVgprs: 44
; NumAgprs: 0
; TotalNumVgprs: 44
; ScratchSize: 0
; MemoryBound: 0
; FloatMode: 240
; IeeeMode: 1
; LDSByteSize: 0 bytes/workgroup (compile time only)
; SGPRBlocks: 4
; VGPRBlocks: 5
; NumSGPRsForWavesPerEU: 34
; NumVGPRsForWavesPerEU: 44
; AccumOffset: 44
; Occupancy: 8
; WaveLimiterHint : 0
; COMPUTE_PGM_RSRC2:SCRATCH_EN: 0
; COMPUTE_PGM_RSRC2:USER_SGPR: 6
; COMPUTE_PGM_RSRC2:TRAP_HANDLER: 0
; COMPUTE_PGM_RSRC2:TGID_X_EN: 1
; COMPUTE_PGM_RSRC2:TGID_Y_EN: 0
; COMPUTE_PGM_RSRC2:TGID_Z_EN: 0
; COMPUTE_PGM_RSRC2:TIDIG_COMP_CNT: 0
; COMPUTE_PGM_RSRC3_GFX90A:ACCUM_OFFSET: 10
; COMPUTE_PGM_RSRC3_GFX90A:TG_SPLIT: 0
	.section	.text._ZN2at6native12_GLOBAL__N_125multi_tensor_apply_kernelINS1_18TensorListMetadataILi3EEENS1_22TernaryOpScalarFunctorIN3c107complexIdEELi3ELi2ELi2EEEJNS0_11LerpFunctorIS8_EES8_EEEvT_T0_DpT1_,"axG",@progbits,_ZN2at6native12_GLOBAL__N_125multi_tensor_apply_kernelINS1_18TensorListMetadataILi3EEENS1_22TernaryOpScalarFunctorIN3c107complexIdEELi3ELi2ELi2EEEJNS0_11LerpFunctorIS8_EES8_EEEvT_T0_DpT1_,comdat
	.globl	_ZN2at6native12_GLOBAL__N_125multi_tensor_apply_kernelINS1_18TensorListMetadataILi3EEENS1_22TernaryOpScalarFunctorIN3c107complexIdEELi3ELi2ELi2EEEJNS0_11LerpFunctorIS8_EES8_EEEvT_T0_DpT1_ ; -- Begin function _ZN2at6native12_GLOBAL__N_125multi_tensor_apply_kernelINS1_18TensorListMetadataILi3EEENS1_22TernaryOpScalarFunctorIN3c107complexIdEELi3ELi2ELi2EEEJNS0_11LerpFunctorIS8_EES8_EEEvT_T0_DpT1_
	.p2align	8
	.type	_ZN2at6native12_GLOBAL__N_125multi_tensor_apply_kernelINS1_18TensorListMetadataILi3EEENS1_22TernaryOpScalarFunctorIN3c107complexIdEELi3ELi2ELi2EEEJNS0_11LerpFunctorIS8_EES8_EEEvT_T0_DpT1_,@function
_ZN2at6native12_GLOBAL__N_125multi_tensor_apply_kernelINS1_18TensorListMetadataILi3EEENS1_22TernaryOpScalarFunctorIN3c107complexIdEELi3ELi2ELi2EEEJNS0_11LerpFunctorIS8_EES8_EEEvT_T0_DpT1_: ; @_ZN2at6native12_GLOBAL__N_125multi_tensor_apply_kernelINS1_18TensorListMetadataILi3EEENS1_22TernaryOpScalarFunctorIN3c107complexIdEELi3ELi2ELi2EEEJNS0_11LerpFunctorIS8_EES8_EEEvT_T0_DpT1_
; %bb.0:
	v_mov_b32_e32 v1, s6
	global_load_ubyte v1, v1, s[4:5] offset:1536
	s_add_u32 s0, s4, s6
	s_mul_hi_u32 s1, s6, 3
	s_mul_i32 s6, s6, 3
	s_addc_u32 s2, s5, 0
	s_add_u32 s0, s0, s6
	s_addc_u32 s1, s2, s1
	s_load_dword s2, s[0:1], 0x740
	s_load_dwordx4 s[12:15], s[4:5], 0xc50
	s_mov_b32 s21, 0
	s_mov_b32 s1, s21
	s_waitcnt lgkmcnt(0)
	s_ashr_i32 s3, s2, 31
	s_lshl_b64 s[16:17], s[2:3], 20
	s_waitcnt vmcnt(0)
	v_readfirstlane_b32 s0, v1
	s_lshl_b32 s0, s0, 3
	s_load_dwordx2 s[6:7], s[4:5], s0 offset:0x0
	s_load_dwordx2 s[8:9], s[4:5], s0 offset:0x180
	;; [unrolled: 1-line block ×4, first 2 shown]
	s_waitcnt lgkmcnt(0)
	s_add_u32 s30, s6, s16
	s_addc_u32 s31, s7, s17
	s_add_u32 s33, s8, s16
	s_addc_u32 s34, s9, s17
	;; [unrolled: 2-line block ×3, first 2 shown]
	s_or_b32 s0, s35, s33
	s_lshl_b64 s[2:3], s[2:3], 16
	s_and_b32 s20, s30, 63
	s_and_b32 s0, s0, 63
	s_cmp_lg_u32 s0, 0
	s_cselect_b64 s[24:25], -1, 0
	s_sub_u32 s18, s22, s2
	s_subb_u32 s19, s23, s3
	s_and_b32 s0, s22, 3
	s_or_b64 s[0:1], s[20:21], s[0:1]
	s_cmp_lg_u64 s[0:1], 0
	s_cselect_b64 s[0:1], -1, 0
	s_or_b64 s[0:1], s[24:25], s[0:1]
	s_andn2_b64 vcc, exec, s[0:1]
	s_mov_b64 s[0:1], -1
	s_cbranch_vccz .LBB14_21
; %bb.1:
	v_mov_b32_e32 v35, 0
	v_lshlrev_b32_e32 v34, 2, v0
	v_cmp_gt_i64_e32 vcc, s[18:19], v[34:35]
	s_and_saveexec_b64 s[22:23], vcc
	s_cbranch_execz .LBB14_20
; %bb.2:
	s_load_dword s2, s[4:5], 0xc6c
	v_mul_f64 v[2:3], s[14:15], s[14:15]
	s_mov_b32 s0, 0
	v_fmac_f64_e64 v[2:3], s[12:13], s[12:13]
	s_mov_b32 s1, 0x3fd00000
	s_waitcnt lgkmcnt(0)
	s_and_b32 s2, s2, 0xffff
	v_cmp_ngt_f64_e64 s[0:1], s[0:1], v[2:3]
	v_add_f64 v[36:37], -s[12:13], 1.0
	s_mov_b64 s[24:25], 0
	v_add_f64 v[38:39], -s[14:15], 0
	v_add_lshl_u32 v34, v0, s2, 2
	s_lshl_b32 s20, s2, 2
	v_lshlrev_b32_e32 v40, 6, v0
	s_lshl_b32 s37, s2, 6
	s_mov_b64 s[26:27], 0xffff
	s_branch .LBB14_4
.LBB14_3:                               ;   in Loop: Header=BB14_4 Depth=1
	v_mov_b32_e32 v1, s36
	v_add_co_u32_e32 v2, vcc, s35, v40
	v_addc_co_u32_e32 v3, vcc, 0, v1, vcc
	v_cmp_le_i64_e32 vcc, s[18:19], v[34:35]
	v_cmp_lt_u64_e64 s[2:3], s[26:27], v[34:35]
	s_or_b64 s[2:3], vcc, s[2:3]
	s_add_u32 s30, s30, s37
	s_addc_u32 s31, s31, 0
	s_add_u32 s35, s35, s37
	s_addc_u32 s36, s36, 0
	s_add_u32 s33, s33, s37
	s_addc_u32 s34, s34, 0
	v_mov_b32_e32 v1, s21
	s_and_b64 s[2:3], exec, s[2:3]
	v_add_co_u32_e32 v34, vcc, s20, v34
	s_or_b64 s[24:25], s[2:3], s[24:25]
	v_addc_co_u32_e32 v35, vcc, v35, v1, vcc
	global_store_dwordx4 v[2:3], v[6:9], off
	global_store_dwordx4 v[2:3], v[18:21], off offset:16
	global_store_dwordx4 v[2:3], v[22:25], off offset:32
	;; [unrolled: 1-line block ×3, first 2 shown]
	s_andn2_b64 exec, exec, s[24:25]
	s_cbranch_execz .LBB14_20
.LBB14_4:                               ; =>This Inner Loop Header: Depth=1
	v_mov_b32_e32 v1, s31
	v_add_co_u32_e32 v42, vcc, s30, v40
	v_addc_co_u32_e32 v43, vcc, 0, v1, vcc
	global_load_dwordx4 v[26:29], v[42:43], off offset:16
	global_load_dwordx4 v[30:33], v[42:43], off
	v_mov_b32_e32 v1, s34
	v_add_co_u32_e32 v44, vcc, s33, v40
	v_addc_co_u32_e32 v45, vcc, 0, v1, vcc
	global_load_dwordx4 v[18:21], v[44:45], off offset:16
	global_load_dwordx4 v[6:9], v[44:45], off
	global_load_dwordx4 v[2:5], v[42:43], off offset:48
	global_load_dwordx4 v[14:17], v[42:43], off offset:32
	;; [unrolled: 1-line block ×4, first 2 shown]
	s_and_b64 vcc, exec, s[0:1]
	s_waitcnt vmcnt(4)
	v_add_f64 v[42:43], v[6:7], -v[30:31]
	v_add_f64 v[44:45], v[8:9], -v[32:33]
	s_cbranch_vccz .LBB14_6
; %bb.5:                                ;   in Loop: Header=BB14_4 Depth=1
	v_mul_f64 v[46:47], v[38:39], v[44:45]
	v_mul_f64 v[48:49], v[36:37], v[44:45]
	v_fma_f64 v[46:47], v[36:37], v[42:43], -v[46:47]
	v_fmac_f64_e32 v[48:49], v[38:39], v[42:43]
	v_add_f64 v[6:7], v[6:7], -v[46:47]
	v_add_f64 v[8:9], v[8:9], -v[48:49]
	s_cbranch_execz .LBB14_7
	s_branch .LBB14_8
.LBB14_6:                               ;   in Loop: Header=BB14_4 Depth=1
                                        ; implicit-def: $vgpr8_vgpr9
.LBB14_7:                               ;   in Loop: Header=BB14_4 Depth=1
	v_mul_f64 v[6:7], s[14:15], v[44:45]
	v_mul_f64 v[8:9], s[12:13], v[44:45]
	v_fma_f64 v[6:7], s[12:13], v[42:43], -v[6:7]
	v_fmac_f64_e32 v[8:9], s[14:15], v[42:43]
	v_add_f64 v[6:7], v[30:31], v[6:7]
	v_add_f64 v[8:9], v[32:33], v[8:9]
.LBB14_8:                               ;   in Loop: Header=BB14_4 Depth=1
	v_cndmask_b32_e64 v1, 0, 1, s[0:1]
	v_add_f64 v[30:31], v[18:19], -v[26:27]
	v_cmp_ne_u32_e64 s[2:3], 1, v1
	s_andn2_b64 vcc, exec, s[0:1]
	v_add_f64 v[32:33], v[20:21], -v[28:29]
	s_cbranch_vccnz .LBB14_10
; %bb.9:                                ;   in Loop: Header=BB14_4 Depth=1
	v_mul_f64 v[42:43], v[38:39], v[32:33]
	v_mul_f64 v[44:45], v[36:37], v[32:33]
	v_fma_f64 v[42:43], v[36:37], v[30:31], -v[42:43]
	v_fmac_f64_e32 v[44:45], v[38:39], v[30:31]
	v_add_f64 v[18:19], v[18:19], -v[42:43]
	v_add_f64 v[20:21], v[20:21], -v[44:45]
	s_cbranch_execz .LBB14_11
	s_branch .LBB14_12
.LBB14_10:                              ;   in Loop: Header=BB14_4 Depth=1
                                        ; implicit-def: $vgpr20_vgpr21
.LBB14_11:                              ;   in Loop: Header=BB14_4 Depth=1
	v_mul_f64 v[18:19], s[14:15], v[32:33]
	v_mul_f64 v[20:21], s[12:13], v[32:33]
	v_fma_f64 v[18:19], s[12:13], v[30:31], -v[18:19]
	v_fmac_f64_e32 v[20:21], s[14:15], v[30:31]
	v_add_f64 v[18:19], v[26:27], v[18:19]
	v_add_f64 v[20:21], v[28:29], v[20:21]
.LBB14_12:                              ;   in Loop: Header=BB14_4 Depth=1
	s_waitcnt vmcnt(0)
	v_add_f64 v[26:27], v[22:23], -v[14:15]
	s_and_b64 vcc, exec, s[2:3]
	v_add_f64 v[28:29], v[24:25], -v[16:17]
	s_cbranch_vccnz .LBB14_14
; %bb.13:                               ;   in Loop: Header=BB14_4 Depth=1
	v_mul_f64 v[30:31], v[38:39], v[28:29]
	v_mul_f64 v[32:33], v[36:37], v[28:29]
	v_fma_f64 v[30:31], v[36:37], v[26:27], -v[30:31]
	v_fmac_f64_e32 v[32:33], v[38:39], v[26:27]
	v_add_f64 v[22:23], v[22:23], -v[30:31]
	v_add_f64 v[24:25], v[24:25], -v[32:33]
	s_cbranch_execz .LBB14_15
	s_branch .LBB14_16
.LBB14_14:                              ;   in Loop: Header=BB14_4 Depth=1
                                        ; implicit-def: $vgpr24_vgpr25
.LBB14_15:                              ;   in Loop: Header=BB14_4 Depth=1
	v_mul_f64 v[22:23], s[14:15], v[28:29]
	v_mul_f64 v[24:25], s[12:13], v[28:29]
	v_fma_f64 v[22:23], s[12:13], v[26:27], -v[22:23]
	v_fmac_f64_e32 v[24:25], s[14:15], v[26:27]
	v_add_f64 v[22:23], v[14:15], v[22:23]
	v_add_f64 v[24:25], v[16:17], v[24:25]
.LBB14_16:                              ;   in Loop: Header=BB14_4 Depth=1
	v_add_f64 v[14:15], v[10:11], -v[2:3]
	s_and_b64 vcc, exec, s[2:3]
	v_add_f64 v[16:17], v[12:13], -v[4:5]
	s_cbranch_vccnz .LBB14_18
; %bb.17:                               ;   in Loop: Header=BB14_4 Depth=1
	v_mul_f64 v[26:27], v[38:39], v[16:17]
	v_mul_f64 v[28:29], v[36:37], v[16:17]
	v_fma_f64 v[26:27], v[36:37], v[14:15], -v[26:27]
	v_fmac_f64_e32 v[28:29], v[38:39], v[14:15]
	v_add_f64 v[10:11], v[10:11], -v[26:27]
	v_add_f64 v[12:13], v[12:13], -v[28:29]
	s_cbranch_execnz .LBB14_3
	s_branch .LBB14_19
.LBB14_18:                              ;   in Loop: Header=BB14_4 Depth=1
                                        ; implicit-def: $vgpr12_vgpr13
.LBB14_19:                              ;   in Loop: Header=BB14_4 Depth=1
	v_mul_f64 v[10:11], s[14:15], v[16:17]
	v_mul_f64 v[12:13], s[12:13], v[16:17]
	v_fma_f64 v[10:11], s[12:13], v[14:15], -v[10:11]
	v_fmac_f64_e32 v[12:13], s[14:15], v[14:15]
	v_add_f64 v[10:11], v[2:3], v[10:11]
	v_add_f64 v[12:13], v[4:5], v[12:13]
	s_branch .LBB14_3
.LBB14_20:
	s_or_b64 exec, exec, s[22:23]
	s_mov_b64 s[0:1], 0
.LBB14_21:
	s_andn2_b64 vcc, exec, s[0:1]
	s_cbranch_vccnz .LBB14_57
; %bb.22:
	v_cmp_lt_i64_e64 s[0:1], s[18:19], 1
	s_and_b64 vcc, exec, s[0:1]
	s_cbranch_vccnz .LBB14_57
; %bb.23:
	s_load_dword s0, s[4:5], 0xc6c
	v_mov_b32_e32 v2, 0x10000
	v_mov_b32_e32 v3, 0
	v_cmp_lt_u64_e32 vcc, s[18:19], v[2:3]
	v_mul_f64 v[2:3], s[14:15], s[14:15]
	s_waitcnt lgkmcnt(0)
	s_and_b32 s29, s0, 0xffff
	s_and_b64 s[0:1], vcc, exec
	s_mov_b32 s0, 0
	v_fmac_f64_e64 v[2:3], s[12:13], s[12:13]
	s_mov_b32 s1, 0x3fd00000
	v_lshlrev_b32_e32 v4, 4, v0
	v_cmp_ngt_f64_e64 s[0:1], s[0:1], v[2:3]
	v_or_b32_e32 v2, 8, v4
	v_mov_b32_e32 v5, s9
	v_add_co_u32_e32 v38, vcc, s8, v2
	v_addc_co_u32_e32 v39, vcc, 0, v5, vcc
	v_mov_b32_e32 v6, s7
	v_add_co_u32_e32 v40, vcc, s6, v2
	v_addc_co_u32_e32 v41, vcc, 0, v6, vcc
	v_add_lshl_u32 v7, v0, s29, 4
	v_mov_b32_e32 v8, s11
	v_add_co_u32_e32 v42, vcc, s10, v7
	v_addc_co_u32_e32 v43, vcc, 0, v8, vcc
	v_add_co_u32_e32 v44, vcc, s10, v2
	v_mov_b32_e32 v1, 0
	v_addc_co_u32_e32 v45, vcc, 0, v8, vcc
	v_mov_b32_e32 v3, v1
	v_add_co_u32_e32 v46, vcc, s6, v7
	v_addc_co_u32_e32 v47, vcc, 0, v6, vcc
	v_mad_u64_u32 v[2:3], s[2:3], s29, 48, v[2:3]
	v_add_co_u32_e32 v48, vcc, s8, v2
	v_addc_co_u32_e32 v49, vcc, v5, v3, vcc
	v_add_co_u32_e32 v50, vcc, s8, v7
	v_addc_co_u32_e32 v51, vcc, 0, v5, vcc
	;; [unrolled: 2-line block ×3, first 2 shown]
	v_add_co_u32_e32 v54, vcc, s10, v2
	s_cselect_b32 s21, s19, 0
	s_cselect_b32 s20, s18, 0x10000
	v_addc_co_u32_e32 v55, vcc, v8, v3, vcc
	s_lshl_b32 s2, s29, 5
	v_add_co_u32_e32 v2, vcc, s2, v4
	v_addc_co_u32_e64 v3, s[2:3], 0, 0, vcc
	v_add_co_u32_e32 v56, vcc, s10, v2
	v_addc_co_u32_e32 v57, vcc, v8, v3, vcc
	v_or_b32_e32 v2, 8, v2
	v_add_co_u32_e32 v58, vcc, s8, v2
	s_mov_b32 s28, 0
	v_addc_co_u32_e32 v59, vcc, v5, v3, vcc
	s_lshl_b32 s22, s29, 2
	s_mov_b32 s23, s28
	v_add_co_u32_e32 v60, vcc, s6, v2
	s_lshl_b32 s30, s29, 1
	s_mov_b32 s31, s28
	s_mul_i32 s33, s29, 3
	s_mov_b32 s34, s28
	v_add_f64 v[34:35], -s[12:13], 1.0
	v_add_f64 v[36:37], -s[14:15], 0
	s_lshl_b32 s35, s29, 6
	s_mov_b32 s36, s28
	v_addc_co_u32_e32 v61, vcc, v6, v3, vcc
	s_mov_b64 s[24:25], s[22:23]
	s_branch .LBB14_25
.LBB14_24:                              ;   in Loop: Header=BB14_25 Depth=1
	s_or_b64 exec, exec, s[2:3]
	v_pk_mov_b32 v[2:3], s[18:19], s[18:19] op_sel:[0,1]
	v_cmp_ge_i64_e32 vcc, s[24:25], v[2:3]
	v_mov_b32_e32 v2, 0xffff
	v_mov_b32_e32 v3, 0
	v_cmp_gt_u64_e64 s[2:3], s[24:25], v[2:3]
	s_or_b64 s[2:3], vcc, s[2:3]
	v_mov_b32_e32 v2, s23
	v_add_co_u32_e32 v0, vcc, s22, v0
	v_addc_co_u32_e32 v1, vcc, v1, v2, vcc
	v_mov_b32_e32 v2, s36
	v_add_co_u32_e32 v38, vcc, s35, v38
	v_addc_co_u32_e32 v39, vcc, v39, v2, vcc
	v_add_co_u32_e32 v40, vcc, s35, v40
	v_addc_co_u32_e32 v41, vcc, v41, v2, vcc
	;; [unrolled: 2-line block ×11, first 2 shown]
	v_add_co_u32_e32 v60, vcc, s35, v60
	s_add_u32 s24, s24, s22
	v_addc_co_u32_e32 v61, vcc, v61, v2, vcc
	s_addc_u32 s25, s25, 0
	s_and_b64 vcc, exec, s[2:3]
	s_cbranch_vccnz .LBB14_57
.LBB14_25:                              ; =>This Inner Loop Header: Depth=1
	v_pk_mov_b32 v[4:5], 0, 0
	v_cmp_gt_u64_e64 s[2:3], s[20:21], v[0:1]
	v_pk_mov_b32 v[24:25], v[4:5], v[4:5] op_sel:[0,1]
	v_pk_mov_b32 v[22:23], v[4:5], v[4:5] op_sel:[0,1]
	;; [unrolled: 1-line block ×4, first 2 shown]
	s_and_saveexec_b64 s[4:5], s[2:3]
	s_cbranch_execz .LBB14_27
; %bb.26:                               ;   in Loop: Header=BB14_25 Depth=1
	v_mov_b32_e32 v6, s17
	v_add_co_u32_e32 v2, vcc, s16, v38
	v_addc_co_u32_e32 v3, vcc, v39, v6, vcc
	v_add_co_u32_e32 v10, vcc, s16, v40
	v_addc_co_u32_e32 v11, vcc, v41, v6, vcc
	global_load_dwordx4 v[6:9], v[10:11], off offset:-8
	global_load_dwordx4 v[22:25], v[2:3], off offset:-8
.LBB14_27:                              ;   in Loop: Header=BB14_25 Depth=1
	s_or_b64 exec, exec, s[4:5]
	v_mov_b32_e32 v3, s28
	v_add_co_u32_e32 v2, vcc, s29, v0
	v_addc_co_u32_e32 v3, vcc, v3, v1, vcc
	v_cmp_gt_u64_e64 s[4:5], s[20:21], v[2:3]
	v_pk_mov_b32 v[2:3], v[4:5], v[4:5] op_sel:[0,1]
	v_pk_mov_b32 v[12:13], v[4:5], v[4:5] op_sel:[0,1]
	;; [unrolled: 1-line block ×3, first 2 shown]
	s_and_saveexec_b64 s[6:7], s[4:5]
	s_cbranch_execz .LBB14_29
; %bb.28:                               ;   in Loop: Header=BB14_25 Depth=1
	v_mov_b32_e32 v2, s17
	v_add_co_u32_e32 v14, vcc, s16, v50
	v_addc_co_u32_e32 v15, vcc, v51, v2, vcc
	v_add_co_u32_e32 v16, vcc, s16, v46
	v_addc_co_u32_e32 v17, vcc, v47, v2, vcc
	global_load_dwordx4 v[10:13], v[16:17], off
	global_load_dwordx4 v[2:5], v[14:15], off
.LBB14_29:                              ;   in Loop: Header=BB14_25 Depth=1
	s_or_b64 exec, exec, s[6:7]
	v_mov_b32_e32 v15, s31
	v_add_co_u32_e32 v14, vcc, s30, v0
	v_addc_co_u32_e32 v15, vcc, v15, v1, vcc
	v_pk_mov_b32 v[16:17], 0, 0
	v_cmp_gt_u64_e64 s[6:7], s[20:21], v[14:15]
	v_pk_mov_b32 v[32:33], v[16:17], v[16:17] op_sel:[0,1]
	v_pk_mov_b32 v[30:31], v[16:17], v[16:17] op_sel:[0,1]
	;; [unrolled: 1-line block ×4, first 2 shown]
	s_and_saveexec_b64 s[8:9], s[6:7]
	s_cbranch_execz .LBB14_31
; %bb.30:                               ;   in Loop: Header=BB14_25 Depth=1
	v_mov_b32_e32 v18, s17
	v_add_co_u32_e32 v14, vcc, s16, v58
	v_addc_co_u32_e32 v15, vcc, v59, v18, vcc
	v_add_co_u32_e32 v26, vcc, s16, v60
	v_addc_co_u32_e32 v27, vcc, v61, v18, vcc
	global_load_dwordx4 v[18:21], v[26:27], off offset:-8
	global_load_dwordx4 v[30:33], v[14:15], off offset:-8
.LBB14_31:                              ;   in Loop: Header=BB14_25 Depth=1
	s_or_b64 exec, exec, s[8:9]
	v_mov_b32_e32 v15, s34
	v_add_co_u32_e32 v14, vcc, s33, v0
	v_addc_co_u32_e32 v15, vcc, v15, v1, vcc
	v_cmp_gt_u64_e64 s[8:9], s[20:21], v[14:15]
	v_pk_mov_b32 v[14:15], v[16:17], v[16:17] op_sel:[0,1]
	v_pk_mov_b32 v[28:29], v[16:17], v[16:17] op_sel:[0,1]
	;; [unrolled: 1-line block ×3, first 2 shown]
	s_and_saveexec_b64 s[10:11], s[8:9]
	s_cbranch_execz .LBB14_33
; %bb.32:                               ;   in Loop: Header=BB14_25 Depth=1
	v_mov_b32_e32 v14, s17
	v_add_co_u32_e32 v62, vcc, s16, v48
	v_addc_co_u32_e32 v63, vcc, v49, v14, vcc
	v_add_co_u32_e32 v64, vcc, s16, v52
	v_addc_co_u32_e32 v65, vcc, v53, v14, vcc
	global_load_dwordx4 v[26:29], v[64:65], off offset:-8
	global_load_dwordx4 v[14:17], v[62:63], off offset:-8
.LBB14_33:                              ;   in Loop: Header=BB14_25 Depth=1
	s_or_b64 exec, exec, s[10:11]
	s_waitcnt vmcnt(0)
	v_add_f64 v[64:65], v[22:23], -v[6:7]
	v_add_f64 v[62:63], v[24:25], -v[8:9]
	s_and_b64 vcc, exec, s[0:1]
	s_cbranch_vccz .LBB14_49
; %bb.34:                               ;   in Loop: Header=BB14_25 Depth=1
	v_mul_f64 v[66:67], v[36:37], v[62:63]
	v_mul_f64 v[68:69], v[36:37], v[64:65]
	v_fma_f64 v[66:67], v[34:35], v[64:65], -v[66:67]
	v_fmac_f64_e32 v[68:69], v[34:35], v[62:63]
	v_add_f64 v[22:23], v[22:23], -v[66:67]
	v_add_f64 v[24:25], v[24:25], -v[68:69]
	s_cbranch_execnz .LBB14_36
.LBB14_35:                              ;   in Loop: Header=BB14_25 Depth=1
	v_mul_f64 v[22:23], s[14:15], v[62:63]
	v_mul_f64 v[24:25], s[14:15], v[64:65]
	v_fma_f64 v[22:23], s[12:13], v[64:65], -v[22:23]
	v_fmac_f64_e32 v[24:25], s[12:13], v[62:63]
	v_add_f64 v[22:23], v[6:7], v[22:23]
	v_add_f64 v[24:25], v[8:9], v[24:25]
.LBB14_36:                              ;   in Loop: Header=BB14_25 Depth=1
	v_cndmask_b32_e64 v8, 0, 1, s[0:1]
	v_add_f64 v[6:7], v[2:3], -v[10:11]
	v_cmp_ne_u32_e64 s[10:11], 1, v8
	s_andn2_b64 vcc, exec, s[0:1]
	v_add_f64 v[8:9], v[4:5], -v[12:13]
	s_cbranch_vccnz .LBB14_50
; %bb.37:                               ;   in Loop: Header=BB14_25 Depth=1
	v_mul_f64 v[62:63], v[36:37], v[8:9]
	v_mul_f64 v[64:65], v[36:37], v[6:7]
	v_fma_f64 v[62:63], v[34:35], v[6:7], -v[62:63]
	v_fmac_f64_e32 v[64:65], v[34:35], v[8:9]
	v_add_f64 v[2:3], v[2:3], -v[62:63]
	v_add_f64 v[4:5], v[4:5], -v[64:65]
	s_cbranch_execnz .LBB14_39
.LBB14_38:                              ;   in Loop: Header=BB14_25 Depth=1
	v_mul_f64 v[2:3], s[14:15], v[8:9]
	v_mul_f64 v[4:5], s[14:15], v[6:7]
	v_fma_f64 v[2:3], s[12:13], v[6:7], -v[2:3]
	v_fmac_f64_e32 v[4:5], s[12:13], v[8:9]
	v_add_f64 v[2:3], v[10:11], v[2:3]
	v_add_f64 v[4:5], v[12:13], v[4:5]
.LBB14_39:                              ;   in Loop: Header=BB14_25 Depth=1
	v_add_f64 v[10:11], v[30:31], -v[18:19]
	s_and_b64 vcc, exec, s[10:11]
	v_add_f64 v[12:13], v[32:33], -v[20:21]
	s_cbranch_vccnz .LBB14_51
; %bb.40:                               ;   in Loop: Header=BB14_25 Depth=1
	v_mul_f64 v[6:7], v[36:37], v[12:13]
	v_mul_f64 v[8:9], v[36:37], v[10:11]
	v_fma_f64 v[6:7], v[34:35], v[10:11], -v[6:7]
	v_fmac_f64_e32 v[8:9], v[34:35], v[12:13]
	v_add_f64 v[6:7], v[30:31], -v[6:7]
	v_add_f64 v[8:9], v[32:33], -v[8:9]
	s_cbranch_execnz .LBB14_42
.LBB14_41:                              ;   in Loop: Header=BB14_25 Depth=1
	v_mul_f64 v[6:7], s[14:15], v[12:13]
	v_mul_f64 v[8:9], s[14:15], v[10:11]
	v_fma_f64 v[6:7], s[12:13], v[10:11], -v[6:7]
	v_fmac_f64_e32 v[8:9], s[12:13], v[12:13]
	v_add_f64 v[6:7], v[18:19], v[6:7]
	v_add_f64 v[8:9], v[20:21], v[8:9]
.LBB14_42:                              ;   in Loop: Header=BB14_25 Depth=1
	v_add_f64 v[18:19], v[14:15], -v[26:27]
	s_and_b64 vcc, exec, s[10:11]
	v_add_f64 v[20:21], v[16:17], -v[28:29]
	s_cbranch_vccnz .LBB14_52
; %bb.43:                               ;   in Loop: Header=BB14_25 Depth=1
	v_mul_f64 v[10:11], v[36:37], v[20:21]
	v_mul_f64 v[12:13], v[36:37], v[18:19]
	v_fma_f64 v[10:11], v[34:35], v[18:19], -v[10:11]
	v_fmac_f64_e32 v[12:13], v[34:35], v[20:21]
	v_add_f64 v[10:11], v[14:15], -v[10:11]
	v_add_f64 v[12:13], v[16:17], -v[12:13]
	s_cbranch_execnz .LBB14_45
.LBB14_44:                              ;   in Loop: Header=BB14_25 Depth=1
	v_mul_f64 v[10:11], s[14:15], v[20:21]
	v_mul_f64 v[12:13], s[14:15], v[18:19]
	v_fma_f64 v[10:11], s[12:13], v[18:19], -v[10:11]
	v_fmac_f64_e32 v[12:13], s[12:13], v[20:21]
	v_add_f64 v[10:11], v[26:27], v[10:11]
	v_add_f64 v[12:13], v[28:29], v[12:13]
.LBB14_45:                              ;   in Loop: Header=BB14_25 Depth=1
	s_and_saveexec_b64 s[10:11], s[2:3]
	s_xor_b64 s[2:3], exec, s[10:11]
	s_cbranch_execnz .LBB14_53
; %bb.46:                               ;   in Loop: Header=BB14_25 Depth=1
	s_or_b64 exec, exec, s[2:3]
	s_and_saveexec_b64 s[2:3], s[4:5]
	s_cbranch_execnz .LBB14_54
.LBB14_47:                              ;   in Loop: Header=BB14_25 Depth=1
	s_or_b64 exec, exec, s[2:3]
	s_and_saveexec_b64 s[2:3], s[6:7]
	s_cbranch_execnz .LBB14_55
.LBB14_48:                              ;   in Loop: Header=BB14_25 Depth=1
	s_or_b64 exec, exec, s[2:3]
	s_and_saveexec_b64 s[2:3], s[8:9]
	s_cbranch_execz .LBB14_24
	s_branch .LBB14_56
.LBB14_49:                              ;   in Loop: Header=BB14_25 Depth=1
                                        ; implicit-def: $vgpr24_vgpr25
	s_branch .LBB14_35
.LBB14_50:                              ;   in Loop: Header=BB14_25 Depth=1
                                        ; implicit-def: $vgpr4_vgpr5
	s_branch .LBB14_38
.LBB14_51:                              ;   in Loop: Header=BB14_25 Depth=1
                                        ; implicit-def: $vgpr8_vgpr9
	s_branch .LBB14_41
.LBB14_52:                              ;   in Loop: Header=BB14_25 Depth=1
                                        ; implicit-def: $vgpr12_vgpr13
	s_branch .LBB14_44
.LBB14_53:                              ;   in Loop: Header=BB14_25 Depth=1
	v_mov_b32_e32 v15, s17
	v_add_co_u32_e32 v14, vcc, s16, v44
	v_addc_co_u32_e32 v15, vcc, v45, v15, vcc
	global_store_dwordx4 v[14:15], v[22:25], off offset:-8
	s_or_b64 exec, exec, s[2:3]
	s_and_saveexec_b64 s[2:3], s[4:5]
	s_cbranch_execz .LBB14_47
.LBB14_54:                              ;   in Loop: Header=BB14_25 Depth=1
	v_mov_b32_e32 v15, s17
	v_add_co_u32_e32 v14, vcc, s16, v42
	v_addc_co_u32_e32 v15, vcc, v43, v15, vcc
	global_store_dwordx4 v[14:15], v[2:5], off
	s_or_b64 exec, exec, s[2:3]
	s_and_saveexec_b64 s[2:3], s[6:7]
	s_cbranch_execz .LBB14_48
.LBB14_55:                              ;   in Loop: Header=BB14_25 Depth=1
	v_mov_b32_e32 v3, s17
	v_add_co_u32_e32 v2, vcc, s16, v56
	v_addc_co_u32_e32 v3, vcc, v57, v3, vcc
	global_store_dwordx4 v[2:3], v[6:9], off
	s_or_b64 exec, exec, s[2:3]
	s_and_saveexec_b64 s[2:3], s[8:9]
	s_cbranch_execz .LBB14_24
.LBB14_56:                              ;   in Loop: Header=BB14_25 Depth=1
	v_mov_b32_e32 v3, s17
	v_add_co_u32_e32 v2, vcc, s16, v54
	v_addc_co_u32_e32 v3, vcc, v55, v3, vcc
	global_store_dwordx4 v[2:3], v[10:13], off offset:-8
	s_branch .LBB14_24
.LBB14_57:
	s_endpgm
	.section	.rodata,"a",@progbits
	.p2align	6, 0x0
	.amdhsa_kernel _ZN2at6native12_GLOBAL__N_125multi_tensor_apply_kernelINS1_18TensorListMetadataILi3EEENS1_22TernaryOpScalarFunctorIN3c107complexIdEELi3ELi2ELi2EEEJNS0_11LerpFunctorIS8_EES8_EEEvT_T0_DpT1_
		.amdhsa_group_segment_fixed_size 0
		.amdhsa_private_segment_fixed_size 0
		.amdhsa_kernarg_size 3424
		.amdhsa_user_sgpr_count 6
		.amdhsa_user_sgpr_private_segment_buffer 1
		.amdhsa_user_sgpr_dispatch_ptr 0
		.amdhsa_user_sgpr_queue_ptr 0
		.amdhsa_user_sgpr_kernarg_segment_ptr 1
		.amdhsa_user_sgpr_dispatch_id 0
		.amdhsa_user_sgpr_flat_scratch_init 0
		.amdhsa_user_sgpr_kernarg_preload_length 0
		.amdhsa_user_sgpr_kernarg_preload_offset 0
		.amdhsa_user_sgpr_private_segment_size 0
		.amdhsa_uses_dynamic_stack 0
		.amdhsa_system_sgpr_private_segment_wavefront_offset 0
		.amdhsa_system_sgpr_workgroup_id_x 1
		.amdhsa_system_sgpr_workgroup_id_y 0
		.amdhsa_system_sgpr_workgroup_id_z 0
		.amdhsa_system_sgpr_workgroup_info 0
		.amdhsa_system_vgpr_workitem_id 0
		.amdhsa_next_free_vgpr 70
		.amdhsa_next_free_sgpr 38
		.amdhsa_accum_offset 72
		.amdhsa_reserve_vcc 1
		.amdhsa_reserve_flat_scratch 0
		.amdhsa_float_round_mode_32 0
		.amdhsa_float_round_mode_16_64 0
		.amdhsa_float_denorm_mode_32 3
		.amdhsa_float_denorm_mode_16_64 3
		.amdhsa_dx10_clamp 1
		.amdhsa_ieee_mode 1
		.amdhsa_fp16_overflow 0
		.amdhsa_tg_split 0
		.amdhsa_exception_fp_ieee_invalid_op 0
		.amdhsa_exception_fp_denorm_src 0
		.amdhsa_exception_fp_ieee_div_zero 0
		.amdhsa_exception_fp_ieee_overflow 0
		.amdhsa_exception_fp_ieee_underflow 0
		.amdhsa_exception_fp_ieee_inexact 0
		.amdhsa_exception_int_div_zero 0
	.end_amdhsa_kernel
	.section	.text._ZN2at6native12_GLOBAL__N_125multi_tensor_apply_kernelINS1_18TensorListMetadataILi3EEENS1_22TernaryOpScalarFunctorIN3c107complexIdEELi3ELi2ELi2EEEJNS0_11LerpFunctorIS8_EES8_EEEvT_T0_DpT1_,"axG",@progbits,_ZN2at6native12_GLOBAL__N_125multi_tensor_apply_kernelINS1_18TensorListMetadataILi3EEENS1_22TernaryOpScalarFunctorIN3c107complexIdEELi3ELi2ELi2EEEJNS0_11LerpFunctorIS8_EES8_EEEvT_T0_DpT1_,comdat
.Lfunc_end14:
	.size	_ZN2at6native12_GLOBAL__N_125multi_tensor_apply_kernelINS1_18TensorListMetadataILi3EEENS1_22TernaryOpScalarFunctorIN3c107complexIdEELi3ELi2ELi2EEEJNS0_11LerpFunctorIS8_EES8_EEEvT_T0_DpT1_, .Lfunc_end14-_ZN2at6native12_GLOBAL__N_125multi_tensor_apply_kernelINS1_18TensorListMetadataILi3EEENS1_22TernaryOpScalarFunctorIN3c107complexIdEELi3ELi2ELi2EEEJNS0_11LerpFunctorIS8_EES8_EEEvT_T0_DpT1_
                                        ; -- End function
	.section	.AMDGPU.csdata,"",@progbits
; Kernel info:
; codeLenInByte = 2616
; NumSgprs: 42
; NumVgprs: 70
; NumAgprs: 0
; TotalNumVgprs: 70
; ScratchSize: 0
; MemoryBound: 1
; FloatMode: 240
; IeeeMode: 1
; LDSByteSize: 0 bytes/workgroup (compile time only)
; SGPRBlocks: 5
; VGPRBlocks: 8
; NumSGPRsForWavesPerEU: 42
; NumVGPRsForWavesPerEU: 70
; AccumOffset: 72
; Occupancy: 7
; WaveLimiterHint : 0
; COMPUTE_PGM_RSRC2:SCRATCH_EN: 0
; COMPUTE_PGM_RSRC2:USER_SGPR: 6
; COMPUTE_PGM_RSRC2:TRAP_HANDLER: 0
; COMPUTE_PGM_RSRC2:TGID_X_EN: 1
; COMPUTE_PGM_RSRC2:TGID_Y_EN: 0
; COMPUTE_PGM_RSRC2:TGID_Z_EN: 0
; COMPUTE_PGM_RSRC2:TIDIG_COMP_CNT: 0
; COMPUTE_PGM_RSRC3_GFX90A:ACCUM_OFFSET: 17
; COMPUTE_PGM_RSRC3_GFX90A:TG_SPLIT: 0
	.section	.text._ZN2at6native12_GLOBAL__N_125multi_tensor_apply_kernelINS1_18TensorListMetadataILi3EEENS1_22TernaryOpScalarFunctorIN3c107complexIfEELi3ELi2ELi2EEEJNS0_11LerpFunctorIS8_EES8_EEEvT_T0_DpT1_,"axG",@progbits,_ZN2at6native12_GLOBAL__N_125multi_tensor_apply_kernelINS1_18TensorListMetadataILi3EEENS1_22TernaryOpScalarFunctorIN3c107complexIfEELi3ELi2ELi2EEEJNS0_11LerpFunctorIS8_EES8_EEEvT_T0_DpT1_,comdat
	.globl	_ZN2at6native12_GLOBAL__N_125multi_tensor_apply_kernelINS1_18TensorListMetadataILi3EEENS1_22TernaryOpScalarFunctorIN3c107complexIfEELi3ELi2ELi2EEEJNS0_11LerpFunctorIS8_EES8_EEEvT_T0_DpT1_ ; -- Begin function _ZN2at6native12_GLOBAL__N_125multi_tensor_apply_kernelINS1_18TensorListMetadataILi3EEENS1_22TernaryOpScalarFunctorIN3c107complexIfEELi3ELi2ELi2EEEJNS0_11LerpFunctorIS8_EES8_EEEvT_T0_DpT1_
	.p2align	8
	.type	_ZN2at6native12_GLOBAL__N_125multi_tensor_apply_kernelINS1_18TensorListMetadataILi3EEENS1_22TernaryOpScalarFunctorIN3c107complexIfEELi3ELi2ELi2EEEJNS0_11LerpFunctorIS8_EES8_EEEvT_T0_DpT1_,@function
_ZN2at6native12_GLOBAL__N_125multi_tensor_apply_kernelINS1_18TensorListMetadataILi3EEENS1_22TernaryOpScalarFunctorIN3c107complexIfEELi3ELi2ELi2EEEJNS0_11LerpFunctorIS8_EES8_EEEvT_T0_DpT1_: ; @_ZN2at6native12_GLOBAL__N_125multi_tensor_apply_kernelINS1_18TensorListMetadataILi3EEENS1_22TernaryOpScalarFunctorIN3c107complexIfEELi3ELi2ELi2EEEJNS0_11LerpFunctorIS8_EES8_EEEvT_T0_DpT1_
; %bb.0:
	v_mov_b32_e32 v1, s6
	global_load_ubyte v1, v1, s[4:5] offset:1536
	s_add_u32 s0, s4, s6
	s_mul_hi_u32 s1, s6, 3
	s_mul_i32 s6, s6, 3
	s_addc_u32 s2, s5, 0
	s_add_u32 s0, s0, s6
	s_addc_u32 s1, s2, s1
	s_load_dword s2, s[0:1], 0x740
	s_load_dwordx2 s[12:13], s[4:5], 0xc50
	s_mov_b32 s1, 0
	s_mov_b32 s7, s1
	s_waitcnt lgkmcnt(0)
	s_ashr_i32 s3, s2, 31
	s_lshl_b64 s[14:15], s[2:3], 19
	s_waitcnt vmcnt(0)
	v_readfirstlane_b32 s0, v1
	s_lshl_b32 s0, s0, 3
	s_load_dwordx2 s[22:23], s[4:5], s0 offset:0x0
	s_load_dwordx2 s[10:11], s[4:5], s0 offset:0x180
	;; [unrolled: 1-line block ×4, first 2 shown]
	s_waitcnt lgkmcnt(0)
	s_add_u32 s26, s22, s14
	s_addc_u32 s27, s23, s15
	s_add_u32 s28, s10, s14
	s_addc_u32 s29, s11, s15
	s_add_u32 s30, s8, s14
	s_addc_u32 s31, s9, s15
	s_or_b32 s6, s30, s28
	s_lshl_b64 s[2:3], s[2:3], 16
	s_and_b32 s0, s26, 31
	s_and_b32 s6, s6, 31
	s_cmp_lg_u32 s6, 0
	s_cselect_b64 s[20:21], -1, 0
	s_sub_u32 s16, s18, s2
	s_subb_u32 s17, s19, s3
	s_and_b32 s6, s18, 3
	s_or_b64 s[0:1], s[0:1], s[6:7]
	s_cmp_lg_u64 s[0:1], 0
	s_cselect_b64 s[0:1], -1, 0
	s_or_b64 s[0:1], s[20:21], s[0:1]
	s_andn2_b64 vcc, exec, s[0:1]
	s_mov_b64 s[0:1], -1
	s_cbranch_vccz .LBB15_21
; %bb.1:
	v_mov_b32_e32 v19, 0
	v_lshlrev_b32_e32 v18, 2, v0
	v_cmp_gt_i64_e32 vcc, s[16:17], v[18:19]
	s_and_saveexec_b64 s[18:19], vcc
	s_cbranch_execz .LBB15_20
; %bb.2:
	s_load_dword s0, s[4:5], 0xc64
	v_pk_mul_f32 v[2:3], s[12:13], s[12:13]
	v_add_f32_e32 v1, v2, v3
	s_mov_b32 s1, 0x3e800000
	v_mov_b32_e32 v18, 1.0
	s_waitcnt lgkmcnt(0)
	s_and_b32 s0, s0, 0xffff
	v_pk_add_f32 v[20:21], s[12:13], v[18:19] neg_lo:[1,0] neg_hi:[1,0]
	v_add_lshl_u32 v18, v0, s0, 2
	s_lshl_b32 s34, s0, 2
	s_lshl_b32 s35, s0, 5
	v_cmp_ngt_f32_e64 s[0:1], s1, v1
	v_cndmask_b32_e64 v1, 0, 1, s[0:1]
	s_mov_b32 s33, 0
	v_lshlrev_b32_e32 v22, 5, v0
	s_mov_b64 s[20:21], 0
	s_mov_b64 s[24:25], 0xffff
	v_cmp_ne_u32_e64 s[2:3], 1, v1
	s_branch .LBB15_4
.LBB15_3:                               ;   in Loop: Header=BB15_4 Depth=1
	v_mov_b32_e32 v1, s31
	v_add_co_u32_e32 v2, vcc, s30, v22
	v_addc_co_u32_e32 v3, vcc, 0, v1, vcc
	v_cmp_le_i64_e32 vcc, s[16:17], v[18:19]
	v_cmp_lt_u64_e64 s[6:7], s[24:25], v[18:19]
	s_or_b64 s[6:7], vcc, s[6:7]
	s_add_u32 s26, s26, s35
	s_addc_u32 s27, s27, 0
	s_add_u32 s30, s30, s35
	s_addc_u32 s31, s31, 0
	;; [unrolled: 2-line block ×3, first 2 shown]
	v_mov_b32_e32 v1, s33
	s_and_b64 s[6:7], exec, s[6:7]
	v_add_co_u32_e32 v18, vcc, s34, v18
	s_or_b64 s[20:21], s[6:7], s[20:21]
	v_addc_co_u32_e32 v19, vcc, v19, v1, vcc
	global_store_dwordx4 v[2:3], v[6:9], off
	global_store_dwordx4 v[2:3], v[10:13], off offset:16
	s_andn2_b64 exec, exec, s[20:21]
	s_cbranch_execz .LBB15_20
.LBB15_4:                               ; =>This Inner Loop Header: Depth=1
	v_mov_b32_e32 v1, s27
	v_add_co_u32_e32 v24, vcc, s26, v22
	v_addc_co_u32_e32 v25, vcc, 0, v1, vcc
	v_mov_b32_e32 v1, s29
	v_add_co_u32_e32 v26, vcc, s28, v22
	v_addc_co_u32_e32 v27, vcc, 0, v1, vcc
	global_load_dwordx4 v[14:17], v[24:25], off
	global_load_dwordx4 v[6:9], v[26:27], off
	global_load_dwordx4 v[2:5], v[24:25], off offset:16
	global_load_dwordx4 v[10:13], v[26:27], off offset:16
	s_and_b64 vcc, exec, s[0:1]
	s_waitcnt vmcnt(2)
	v_pk_add_f32 v[24:25], v[6:7], v[14:15] neg_lo:[0,1] neg_hi:[0,1]
	s_cbranch_vccz .LBB15_6
; %bb.5:                                ;   in Loop: Header=BB15_4 Depth=1
	v_pk_mul_f32 v[26:27], v[20:21], v[24:25] op_sel:[0,1]
	v_pk_fma_f32 v[28:29], v[20:21], v[24:25], v[26:27] op_sel:[0,0,1] op_sel_hi:[1,1,0] neg_lo:[0,0,1] neg_hi:[0,0,1]
	v_pk_fma_f32 v[26:27], v[20:21], v[24:25], v[26:27] op_sel:[0,0,1] op_sel_hi:[1,0,0]
	v_mov_b32_e32 v29, v27
	v_pk_add_f32 v[6:7], v[6:7], v[28:29] neg_lo:[0,1] neg_hi:[0,1]
	s_cbranch_execz .LBB15_7
	s_branch .LBB15_8
.LBB15_6:                               ;   in Loop: Header=BB15_4 Depth=1
                                        ; implicit-def: $vgpr6_vgpr7
.LBB15_7:                               ;   in Loop: Header=BB15_4 Depth=1
	v_pk_mul_f32 v[6:7], v[24:25], s[12:13] op_sel:[1,0]
	v_pk_fma_f32 v[26:27], v[24:25], s[12:13], v[6:7] op_sel:[0,0,1] op_sel_hi:[1,1,0] neg_lo:[0,0,1] neg_hi:[0,0,1]
	v_pk_fma_f32 v[6:7], v[24:25], s[12:13], v[6:7] op_sel:[0,0,1] op_sel_hi:[0,1,0]
	v_mov_b32_e32 v27, v7
	v_pk_add_f32 v[6:7], v[14:15], v[26:27]
.LBB15_8:                               ;   in Loop: Header=BB15_4 Depth=1
	s_and_b64 vcc, exec, s[2:3]
	v_pk_add_f32 v[14:15], v[8:9], v[16:17] neg_lo:[0,1] neg_hi:[0,1]
	s_cbranch_vccnz .LBB15_10
; %bb.9:                                ;   in Loop: Header=BB15_4 Depth=1
	v_pk_mul_f32 v[24:25], v[20:21], v[14:15] op_sel:[0,1]
	v_pk_fma_f32 v[26:27], v[20:21], v[14:15], v[24:25] op_sel:[0,0,1] op_sel_hi:[1,1,0] neg_lo:[0,0,1] neg_hi:[0,0,1]
	v_pk_fma_f32 v[24:25], v[20:21], v[14:15], v[24:25] op_sel:[0,0,1] op_sel_hi:[1,0,0]
	v_mov_b32_e32 v27, v25
	v_pk_add_f32 v[8:9], v[8:9], v[26:27] neg_lo:[0,1] neg_hi:[0,1]
	s_cbranch_execz .LBB15_11
	s_branch .LBB15_12
.LBB15_10:                              ;   in Loop: Header=BB15_4 Depth=1
.LBB15_11:                              ;   in Loop: Header=BB15_4 Depth=1
	v_pk_mul_f32 v[8:9], v[14:15], s[12:13] op_sel:[1,0]
	v_pk_fma_f32 v[24:25], v[14:15], s[12:13], v[8:9] op_sel:[0,0,1] op_sel_hi:[1,1,0] neg_lo:[0,0,1] neg_hi:[0,0,1]
	v_pk_fma_f32 v[8:9], v[14:15], s[12:13], v[8:9] op_sel:[0,0,1] op_sel_hi:[0,1,0]
	v_mov_b32_e32 v25, v9
	v_pk_add_f32 v[8:9], v[16:17], v[24:25]
.LBB15_12:                              ;   in Loop: Header=BB15_4 Depth=1
	s_and_b64 vcc, exec, s[2:3]
	s_waitcnt vmcnt(0)
	v_pk_add_f32 v[14:15], v[10:11], v[2:3] neg_lo:[0,1] neg_hi:[0,1]
	s_cbranch_vccnz .LBB15_14
; %bb.13:                               ;   in Loop: Header=BB15_4 Depth=1
	v_pk_mul_f32 v[16:17], v[20:21], v[14:15] op_sel:[0,1]
	v_pk_fma_f32 v[24:25], v[20:21], v[14:15], v[16:17] op_sel:[0,0,1] op_sel_hi:[1,1,0] neg_lo:[0,0,1] neg_hi:[0,0,1]
	v_pk_fma_f32 v[16:17], v[20:21], v[14:15], v[16:17] op_sel:[0,0,1] op_sel_hi:[1,0,0]
	v_mov_b32_e32 v25, v17
	v_pk_add_f32 v[10:11], v[10:11], v[24:25] neg_lo:[0,1] neg_hi:[0,1]
	s_cbranch_execz .LBB15_15
	s_branch .LBB15_16
.LBB15_14:                              ;   in Loop: Header=BB15_4 Depth=1
                                        ; implicit-def: $vgpr10_vgpr11
.LBB15_15:                              ;   in Loop: Header=BB15_4 Depth=1
	v_pk_mul_f32 v[10:11], v[14:15], s[12:13] op_sel:[1,0]
	v_pk_fma_f32 v[16:17], v[14:15], s[12:13], v[10:11] op_sel:[0,0,1] op_sel_hi:[1,1,0] neg_lo:[0,0,1] neg_hi:[0,0,1]
	v_pk_fma_f32 v[10:11], v[14:15], s[12:13], v[10:11] op_sel:[0,0,1] op_sel_hi:[0,1,0]
	v_mov_b32_e32 v17, v11
	v_pk_add_f32 v[10:11], v[2:3], v[16:17]
.LBB15_16:                              ;   in Loop: Header=BB15_4 Depth=1
	s_and_b64 vcc, exec, s[2:3]
	v_pk_add_f32 v[2:3], v[12:13], v[4:5] neg_lo:[0,1] neg_hi:[0,1]
	s_cbranch_vccnz .LBB15_18
; %bb.17:                               ;   in Loop: Header=BB15_4 Depth=1
	v_pk_mul_f32 v[14:15], v[20:21], v[2:3] op_sel:[0,1]
	v_pk_fma_f32 v[16:17], v[20:21], v[2:3], v[14:15] op_sel:[0,0,1] op_sel_hi:[1,1,0] neg_lo:[0,0,1] neg_hi:[0,0,1]
	v_pk_fma_f32 v[14:15], v[20:21], v[2:3], v[14:15] op_sel:[0,0,1] op_sel_hi:[1,0,0]
	v_mov_b32_e32 v17, v15
	v_pk_add_f32 v[12:13], v[12:13], v[16:17] neg_lo:[0,1] neg_hi:[0,1]
	s_cbranch_execnz .LBB15_3
	s_branch .LBB15_19
.LBB15_18:                              ;   in Loop: Header=BB15_4 Depth=1
.LBB15_19:                              ;   in Loop: Header=BB15_4 Depth=1
	v_pk_mul_f32 v[12:13], v[2:3], s[12:13] op_sel:[1,0]
	v_pk_fma_f32 v[14:15], v[2:3], s[12:13], v[12:13] op_sel:[0,0,1] op_sel_hi:[1,1,0] neg_lo:[0,0,1] neg_hi:[0,0,1]
	v_pk_fma_f32 v[2:3], v[2:3], s[12:13], v[12:13] op_sel:[0,0,1] op_sel_hi:[0,1,0]
	v_mov_b32_e32 v15, v3
	v_pk_add_f32 v[12:13], v[4:5], v[14:15]
	s_branch .LBB15_3
.LBB15_20:
	s_or_b64 exec, exec, s[18:19]
	s_mov_b64 s[0:1], 0
.LBB15_21:
	s_andn2_b64 vcc, exec, s[0:1]
	s_cbranch_vccnz .LBB15_57
; %bb.22:
	v_cmp_lt_i64_e64 s[0:1], s[16:17], 1
	s_and_b64 vcc, exec, s[0:1]
	s_cbranch_vccnz .LBB15_57
; %bb.23:
	s_load_dword s0, s[4:5], 0xc64
	v_mov_b32_e32 v2, 0x10000
	v_mov_b32_e32 v3, 0
	v_cmp_lt_u64_e32 vcc, s[16:17], v[2:3]
	v_pk_mul_f32 v[2:3], s[12:13], s[12:13]
	s_waitcnt lgkmcnt(0)
	s_and_b32 s4, s0, 0xffff
	s_and_b64 s[0:1], vcc, exec
	v_lshlrev_b32_e32 v18, 3, v0
	v_add_f32_e32 v1, v2, v3
	s_mov_b32 s0, 0x3e800000
	v_mov_b32_e32 v23, s23
	v_add_co_u32_e32 v6, vcc, s22, v18
	v_cmp_ngt_f32_e64 s[0:1], s0, v1
	v_addc_co_u32_e32 v1, vcc, 0, v23, vcc
	v_mov_b32_e32 v25, s11
	v_add_co_u32_e32 v8, vcc, s10, v18
	v_addc_co_u32_e32 v7, vcc, 0, v25, vcc
	v_mov_b32_e32 v19, 0
	v_mov_b32_e32 v27, s9
	v_add_co_u32_e32 v10, vcc, s8, v18
	v_addc_co_u32_e32 v9, vcc, 0, v27, vcc
	v_mad_u64_u32 v[16:17], s[2:3], s4, 24, v[18:19]
	v_add_co_u32_e32 v12, vcc, s22, v16
	v_addc_co_u32_e32 v11, vcc, v23, v17, vcc
	v_add_co_u32_e32 v14, vcc, s10, v16
	v_addc_co_u32_e32 v13, vcc, v25, v17, vcc
	v_add_co_u32_e32 v16, vcc, s8, v16
	s_mul_i32 s6, s4, 3
	v_addc_co_u32_e32 v15, vcc, v27, v17, vcc
	v_add_co_u32_e32 v29, vcc, s6, v0
	v_addc_co_u32_e64 v50, s[2:3], 0, 0, vcc
	s_cselect_b32 s19, s17, 0
	s_cselect_b32 s18, s16, 0x10000
	s_lshl_b32 s2, s4, 4
	v_add_co_u32_e32 v21, vcc, s2, v18
	v_addc_co_u32_e64 v24, s[2:3], 0, 0, vcc
	v_add_co_u32_e32 v18, vcc, s22, v21
	v_addc_co_u32_e32 v17, vcc, v23, v24, vcc
	v_add_co_u32_e32 v20, vcc, s10, v21
	v_addc_co_u32_e32 v19, vcc, v25, v24, vcc
	v_add_co_u32_e32 v22, vcc, s8, v21
	s_lshl_b32 s5, s4, 1
	v_addc_co_u32_e32 v21, vcc, v27, v24, vcc
	v_add_co_u32_e32 v51, vcc, s5, v0
	v_addc_co_u32_e64 v52, s[2:3], 0, 0, vcc
	v_add_co_u32_e32 v53, vcc, s4, v0
	v_lshlrev_b32_e32 v28, 3, v53
	v_addc_co_u32_e64 v54, s[2:3], 0, 0, vcc
	v_add_co_u32_e32 v24, vcc, s22, v28
	v_addc_co_u32_e32 v23, vcc, 0, v23, vcc
	v_add_co_u32_e32 v26, vcc, s10, v28
	v_addc_co_u32_e32 v25, vcc, 0, v25, vcc
	v_sub_f32_e64 v2, 1.0, s12
	v_sub_f32_e64 v4, 0, s13
	v_add_co_u32_e32 v28, vcc, s8, v28
	s_mov_b32 s26, 0
	s_lshl_b32 s27, s4, 2
	s_mov_b32 s20, s12
	s_mov_b32 s21, s12
	v_mov_b32_e32 v3, v2
	v_mov_b32_e32 v5, v4
	s_mov_b32 s12, s13
	s_lshl_b32 s28, s4, 5
	v_addc_co_u32_e32 v27, vcc, 0, v27, vcc
	s_mov_b64 s[22:23], 0
	s_branch .LBB15_25
.LBB15_24:                              ;   in Loop: Header=BB15_25 Depth=1
	s_or_b64 exec, exec, s[2:3]
	s_add_u32 s22, s22, s27
	s_addc_u32 s23, s23, 0
	v_pk_mov_b32 v[30:31], s[16:17], s[16:17] op_sel:[0,1]
	v_cmp_ge_i64_e32 vcc, s[22:23], v[30:31]
	v_mov_b32_e32 v30, 0xffff
	v_mov_b32_e32 v31, 0
	v_cmp_gt_u64_e64 s[2:3], s[22:23], v[30:31]
	s_or_b64 s[2:3], vcc, s[2:3]
	v_mov_b32_e32 v30, s26
	v_add_co_u32_e32 v6, vcc, s28, v6
	v_addc_co_u32_e32 v1, vcc, v1, v30, vcc
	v_add_co_u32_e32 v8, vcc, s28, v8
	v_addc_co_u32_e32 v7, vcc, v7, v30, vcc
	;; [unrolled: 2-line block ×12, first 2 shown]
	s_and_b64 vcc, exec, s[2:3]
	s_cbranch_vccnz .LBB15_57
.LBB15_25:                              ; =>This Inner Loop Header: Depth=1
	v_mov_b32_e32 v31, s23
	v_add_co_u32_e32 v30, vcc, s22, v0
	v_addc_co_u32_e32 v31, vcc, 0, v31, vcc
	v_cmp_gt_u64_e64 s[2:3], s[18:19], v[30:31]
	v_mov_b32_e32 v34, 0
	v_mov_b32_e32 v35, 0
	;; [unrolled: 1-line block ×4, first 2 shown]
	s_and_saveexec_b64 s[4:5], s[2:3]
	s_cbranch_execz .LBB15_27
; %bb.26:                               ;   in Loop: Header=BB15_25 Depth=1
	v_mov_b32_e32 v33, s15
	v_add_co_u32_e32 v30, vcc, s14, v8
	v_addc_co_u32_e32 v31, vcc, v7, v33, vcc
	v_add_co_u32_e32 v32, vcc, s14, v6
	v_addc_co_u32_e32 v33, vcc, v1, v33, vcc
	global_load_dwordx2 v[34:35], v[32:33], off
	global_load_dwordx2 v[42:43], v[30:31], off
.LBB15_27:                              ;   in Loop: Header=BB15_25 Depth=1
	s_or_b64 exec, exec, s[4:5]
	v_mov_b32_e32 v31, s23
	v_add_co_u32_e32 v30, vcc, s22, v53
	v_addc_co_u32_e32 v31, vcc, v54, v31, vcc
	v_cmp_gt_u64_e64 s[4:5], s[18:19], v[30:31]
	v_mov_b32_e32 v30, 0
	v_mov_b32_e32 v32, 0
	;; [unrolled: 1-line block ×5, first 2 shown]
	s_and_saveexec_b64 s[6:7], s[4:5]
	s_cbranch_execz .LBB15_29
; %bb.28:                               ;   in Loop: Header=BB15_25 Depth=1
	v_mov_b32_e32 v31, s15
	v_add_co_u32_e32 v36, vcc, s14, v26
	v_addc_co_u32_e32 v37, vcc, v25, v31, vcc
	v_add_co_u32_e32 v40, vcc, s14, v24
	v_addc_co_u32_e32 v41, vcc, v23, v31, vcc
	global_load_dwordx2 v[32:33], v[40:41], off
	global_load_dwordx2 v[38:39], v[36:37], off
.LBB15_29:                              ;   in Loop: Header=BB15_25 Depth=1
	s_or_b64 exec, exec, s[6:7]
	v_mov_b32_e32 v31, s23
	v_add_co_u32_e32 v36, vcc, s22, v51
	v_addc_co_u32_e32 v37, vcc, v52, v31, vcc
	v_cmp_gt_u64_e64 s[6:7], s[18:19], v[36:37]
	v_mov_b32_e32 v31, 0
	v_mov_b32_e32 v40, 0
	;; [unrolled: 1-line block ×3, first 2 shown]
	s_and_saveexec_b64 s[8:9], s[6:7]
	s_cbranch_execz .LBB15_31
; %bb.30:                               ;   in Loop: Header=BB15_25 Depth=1
	v_mov_b32_e32 v30, s15
	v_add_co_u32_e32 v36, vcc, s14, v20
	v_addc_co_u32_e32 v37, vcc, v19, v30, vcc
	v_add_co_u32_e32 v44, vcc, s14, v18
	v_addc_co_u32_e32 v45, vcc, v17, v30, vcc
	global_load_dwordx2 v[30:31], v[44:45], off
	global_load_dwordx2 v[40:41], v[36:37], off
.LBB15_31:                              ;   in Loop: Header=BB15_25 Depth=1
	s_or_b64 exec, exec, s[8:9]
	v_mov_b32_e32 v37, s23
	v_add_co_u32_e32 v36, vcc, s22, v29
	v_addc_co_u32_e32 v37, vcc, v50, v37, vcc
	v_cmp_gt_u64_e64 s[8:9], s[18:19], v[36:37]
	v_mov_b32_e32 v36, 0
	v_mov_b32_e32 v37, v36
	v_mov_b32_e32 v44, v36
	v_mov_b32_e32 v45, v36
	s_and_saveexec_b64 s[10:11], s[8:9]
	s_cbranch_execz .LBB15_33
; %bb.32:                               ;   in Loop: Header=BB15_25 Depth=1
	v_mov_b32_e32 v36, s15
	v_add_co_u32_e32 v46, vcc, s14, v14
	v_addc_co_u32_e32 v47, vcc, v13, v36, vcc
	v_add_co_u32_e32 v48, vcc, s14, v12
	v_addc_co_u32_e32 v49, vcc, v11, v36, vcc
	global_load_dwordx2 v[36:37], v[48:49], off
	global_load_dwordx2 v[44:45], v[46:47], off
.LBB15_33:                              ;   in Loop: Header=BB15_25 Depth=1
	s_or_b64 exec, exec, s[10:11]
	s_waitcnt vmcnt(0)
	v_pk_add_f32 v[46:47], v[42:43], v[34:35] neg_lo:[0,1] neg_hi:[0,1]
	v_mov_b32_e32 v48, v47
	v_mov_b32_e32 v49, v46
	s_and_b64 vcc, exec, s[0:1]
	s_cbranch_vccz .LBB15_49
; %bb.34:                               ;   in Loop: Header=BB15_25 Depth=1
	v_pk_mul_f32 v[56:57], v[4:5], v[48:49]
	v_pk_fma_f32 v[58:59], v[2:3], v[46:47], v[56:57] neg_lo:[0,0,1] neg_hi:[0,0,1]
	v_pk_fma_f32 v[56:57], v[2:3], v[46:47], v[56:57]
	v_mov_b32_e32 v59, v57
	v_pk_add_f32 v[42:43], v[42:43], v[58:59] neg_lo:[0,1] neg_hi:[0,1]
	s_cbranch_execnz .LBB15_36
.LBB15_35:                              ;   in Loop: Header=BB15_25 Depth=1
	v_pk_mul_f32 v[42:43], v[48:49], s[12:13]
	v_pk_fma_f32 v[48:49], v[46:47], s[20:21], v[42:43] neg_lo:[0,0,1] neg_hi:[0,0,1]
	v_pk_fma_f32 v[42:43], v[46:47], s[20:21], v[42:43]
	v_mov_b32_e32 v49, v43
	v_pk_add_f32 v[42:43], v[34:35], v[48:49]
.LBB15_36:                              ;   in Loop: Header=BB15_25 Depth=1
	v_pk_add_f32 v[46:47], v[38:39], v[32:33] neg_lo:[0,1] neg_hi:[0,1]
	v_cndmask_b32_e64 v34, 0, 1, s[0:1]
	v_mov_b32_e32 v48, v47
	v_cmp_ne_u32_e64 s[10:11], 1, v34
	s_andn2_b64 vcc, exec, s[0:1]
	v_mov_b32_e32 v49, v46
	s_cbranch_vccnz .LBB15_50
; %bb.37:                               ;   in Loop: Header=BB15_25 Depth=1
	v_pk_mul_f32 v[34:35], v[4:5], v[48:49]
	v_pk_fma_f32 v[56:57], v[2:3], v[46:47], v[34:35] neg_lo:[0,0,1] neg_hi:[0,0,1]
	v_pk_fma_f32 v[34:35], v[2:3], v[46:47], v[34:35]
	v_mov_b32_e32 v57, v35
	v_pk_add_f32 v[34:35], v[38:39], v[56:57] neg_lo:[0,1] neg_hi:[0,1]
	s_cbranch_execnz .LBB15_39
.LBB15_38:                              ;   in Loop: Header=BB15_25 Depth=1
	v_pk_mul_f32 v[34:35], v[48:49], s[12:13]
	v_pk_fma_f32 v[38:39], v[46:47], s[20:21], v[34:35] neg_lo:[0,0,1] neg_hi:[0,0,1]
	v_pk_fma_f32 v[34:35], v[46:47], s[20:21], v[34:35]
	v_mov_b32_e32 v39, v35
	v_pk_add_f32 v[34:35], v[32:33], v[38:39]
.LBB15_39:                              ;   in Loop: Header=BB15_25 Depth=1
	v_pk_add_f32 v[38:39], v[40:41], v[30:31] neg_lo:[0,1] neg_hi:[0,1]
	v_mov_b32_e32 v46, v39
	s_and_b64 vcc, exec, s[10:11]
	v_mov_b32_e32 v47, v38
	s_cbranch_vccnz .LBB15_51
; %bb.40:                               ;   in Loop: Header=BB15_25 Depth=1
	v_pk_mul_f32 v[32:33], v[4:5], v[46:47]
	v_pk_fma_f32 v[48:49], v[2:3], v[38:39], v[32:33] neg_lo:[0,0,1] neg_hi:[0,0,1]
	v_pk_fma_f32 v[32:33], v[2:3], v[38:39], v[32:33]
	v_mov_b32_e32 v49, v33
	v_pk_add_f32 v[32:33], v[40:41], v[48:49] neg_lo:[0,1] neg_hi:[0,1]
	s_cbranch_execnz .LBB15_42
.LBB15_41:                              ;   in Loop: Header=BB15_25 Depth=1
	v_pk_mul_f32 v[32:33], v[46:47], s[12:13]
	v_pk_fma_f32 v[40:41], v[38:39], s[20:21], v[32:33] neg_lo:[0,0,1] neg_hi:[0,0,1]
	v_pk_fma_f32 v[32:33], v[38:39], s[20:21], v[32:33]
	v_mov_b32_e32 v41, v33
	v_pk_add_f32 v[32:33], v[30:31], v[40:41]
.LBB15_42:                              ;   in Loop: Header=BB15_25 Depth=1
	v_pk_add_f32 v[38:39], v[44:45], v[36:37] neg_lo:[0,1] neg_hi:[0,1]
	v_mov_b32_e32 v40, v39
	s_and_b64 vcc, exec, s[10:11]
	v_mov_b32_e32 v41, v38
	s_cbranch_vccnz .LBB15_52
; %bb.43:                               ;   in Loop: Header=BB15_25 Depth=1
	v_pk_mul_f32 v[30:31], v[4:5], v[40:41]
	v_pk_fma_f32 v[46:47], v[2:3], v[38:39], v[30:31] neg_lo:[0,0,1] neg_hi:[0,0,1]
	v_pk_fma_f32 v[30:31], v[2:3], v[38:39], v[30:31]
	v_mov_b32_e32 v47, v31
	v_pk_add_f32 v[30:31], v[44:45], v[46:47] neg_lo:[0,1] neg_hi:[0,1]
	s_cbranch_execnz .LBB15_45
.LBB15_44:                              ;   in Loop: Header=BB15_25 Depth=1
	v_pk_mul_f32 v[30:31], v[40:41], s[12:13]
	v_pk_fma_f32 v[40:41], v[38:39], s[20:21], v[30:31] neg_lo:[0,0,1] neg_hi:[0,0,1]
	v_pk_fma_f32 v[30:31], v[38:39], s[20:21], v[30:31]
	v_mov_b32_e32 v41, v31
	v_pk_add_f32 v[30:31], v[36:37], v[40:41]
.LBB15_45:                              ;   in Loop: Header=BB15_25 Depth=1
	s_and_saveexec_b64 s[10:11], s[2:3]
	s_xor_b64 s[2:3], exec, s[10:11]
	s_cbranch_execnz .LBB15_53
; %bb.46:                               ;   in Loop: Header=BB15_25 Depth=1
	s_or_b64 exec, exec, s[2:3]
	s_and_saveexec_b64 s[2:3], s[4:5]
	s_cbranch_execnz .LBB15_54
.LBB15_47:                              ;   in Loop: Header=BB15_25 Depth=1
	s_or_b64 exec, exec, s[2:3]
	s_and_saveexec_b64 s[2:3], s[6:7]
	s_cbranch_execnz .LBB15_55
.LBB15_48:                              ;   in Loop: Header=BB15_25 Depth=1
	s_or_b64 exec, exec, s[2:3]
	s_and_saveexec_b64 s[2:3], s[8:9]
	s_cbranch_execz .LBB15_24
	s_branch .LBB15_56
.LBB15_49:                              ;   in Loop: Header=BB15_25 Depth=1
                                        ; implicit-def: $vgpr42_vgpr43
	s_branch .LBB15_35
.LBB15_50:                              ;   in Loop: Header=BB15_25 Depth=1
                                        ; implicit-def: $vgpr34_vgpr35
	s_branch .LBB15_38
.LBB15_51:                              ;   in Loop: Header=BB15_25 Depth=1
                                        ; implicit-def: $vgpr32_vgpr33
	s_branch .LBB15_41
.LBB15_52:                              ;   in Loop: Header=BB15_25 Depth=1
                                        ; implicit-def: $vgpr30_vgpr31
	s_branch .LBB15_44
.LBB15_53:                              ;   in Loop: Header=BB15_25 Depth=1
	v_mov_b32_e32 v37, s15
	v_add_co_u32_e32 v36, vcc, s14, v10
	v_addc_co_u32_e32 v37, vcc, v9, v37, vcc
	global_store_dwordx2 v[36:37], v[42:43], off
	s_or_b64 exec, exec, s[2:3]
	s_and_saveexec_b64 s[2:3], s[4:5]
	s_cbranch_execz .LBB15_47
.LBB15_54:                              ;   in Loop: Header=BB15_25 Depth=1
	v_mov_b32_e32 v37, s15
	v_add_co_u32_e32 v36, vcc, s14, v28
	v_addc_co_u32_e32 v37, vcc, v27, v37, vcc
	global_store_dwordx2 v[36:37], v[34:35], off
	s_or_b64 exec, exec, s[2:3]
	s_and_saveexec_b64 s[2:3], s[6:7]
	s_cbranch_execz .LBB15_48
.LBB15_55:                              ;   in Loop: Header=BB15_25 Depth=1
	v_mov_b32_e32 v35, s15
	v_add_co_u32_e32 v34, vcc, s14, v22
	v_addc_co_u32_e32 v35, vcc, v21, v35, vcc
	global_store_dwordx2 v[34:35], v[32:33], off
	s_or_b64 exec, exec, s[2:3]
	s_and_saveexec_b64 s[2:3], s[8:9]
	s_cbranch_execz .LBB15_24
.LBB15_56:                              ;   in Loop: Header=BB15_25 Depth=1
	v_mov_b32_e32 v33, s15
	v_add_co_u32_e32 v32, vcc, s14, v16
	v_addc_co_u32_e32 v33, vcc, v15, v33, vcc
	global_store_dwordx2 v[32:33], v[30:31], off
	s_branch .LBB15_24
.LBB15_57:
	s_endpgm
	.section	.rodata,"a",@progbits
	.p2align	6, 0x0
	.amdhsa_kernel _ZN2at6native12_GLOBAL__N_125multi_tensor_apply_kernelINS1_18TensorListMetadataILi3EEENS1_22TernaryOpScalarFunctorIN3c107complexIfEELi3ELi2ELi2EEEJNS0_11LerpFunctorIS8_EES8_EEEvT_T0_DpT1_
		.amdhsa_group_segment_fixed_size 0
		.amdhsa_private_segment_fixed_size 0
		.amdhsa_kernarg_size 3416
		.amdhsa_user_sgpr_count 6
		.amdhsa_user_sgpr_private_segment_buffer 1
		.amdhsa_user_sgpr_dispatch_ptr 0
		.amdhsa_user_sgpr_queue_ptr 0
		.amdhsa_user_sgpr_kernarg_segment_ptr 1
		.amdhsa_user_sgpr_dispatch_id 0
		.amdhsa_user_sgpr_flat_scratch_init 0
		.amdhsa_user_sgpr_kernarg_preload_length 0
		.amdhsa_user_sgpr_kernarg_preload_offset 0
		.amdhsa_user_sgpr_private_segment_size 0
		.amdhsa_uses_dynamic_stack 0
		.amdhsa_system_sgpr_private_segment_wavefront_offset 0
		.amdhsa_system_sgpr_workgroup_id_x 1
		.amdhsa_system_sgpr_workgroup_id_y 0
		.amdhsa_system_sgpr_workgroup_id_z 0
		.amdhsa_system_sgpr_workgroup_info 0
		.amdhsa_system_vgpr_workitem_id 0
		.amdhsa_next_free_vgpr 60
		.amdhsa_next_free_sgpr 36
		.amdhsa_accum_offset 60
		.amdhsa_reserve_vcc 1
		.amdhsa_reserve_flat_scratch 0
		.amdhsa_float_round_mode_32 0
		.amdhsa_float_round_mode_16_64 0
		.amdhsa_float_denorm_mode_32 3
		.amdhsa_float_denorm_mode_16_64 3
		.amdhsa_dx10_clamp 1
		.amdhsa_ieee_mode 1
		.amdhsa_fp16_overflow 0
		.amdhsa_tg_split 0
		.amdhsa_exception_fp_ieee_invalid_op 0
		.amdhsa_exception_fp_denorm_src 0
		.amdhsa_exception_fp_ieee_div_zero 0
		.amdhsa_exception_fp_ieee_overflow 0
		.amdhsa_exception_fp_ieee_underflow 0
		.amdhsa_exception_fp_ieee_inexact 0
		.amdhsa_exception_int_div_zero 0
	.end_amdhsa_kernel
	.section	.text._ZN2at6native12_GLOBAL__N_125multi_tensor_apply_kernelINS1_18TensorListMetadataILi3EEENS1_22TernaryOpScalarFunctorIN3c107complexIfEELi3ELi2ELi2EEEJNS0_11LerpFunctorIS8_EES8_EEEvT_T0_DpT1_,"axG",@progbits,_ZN2at6native12_GLOBAL__N_125multi_tensor_apply_kernelINS1_18TensorListMetadataILi3EEENS1_22TernaryOpScalarFunctorIN3c107complexIfEELi3ELi2ELi2EEEJNS0_11LerpFunctorIS8_EES8_EEEvT_T0_DpT1_,comdat
.Lfunc_end15:
	.size	_ZN2at6native12_GLOBAL__N_125multi_tensor_apply_kernelINS1_18TensorListMetadataILi3EEENS1_22TernaryOpScalarFunctorIN3c107complexIfEELi3ELi2ELi2EEEJNS0_11LerpFunctorIS8_EES8_EEEvT_T0_DpT1_, .Lfunc_end15-_ZN2at6native12_GLOBAL__N_125multi_tensor_apply_kernelINS1_18TensorListMetadataILi3EEENS1_22TernaryOpScalarFunctorIN3c107complexIfEELi3ELi2ELi2EEEJNS0_11LerpFunctorIS8_EES8_EEEvT_T0_DpT1_
                                        ; -- End function
	.section	.AMDGPU.csdata,"",@progbits
; Kernel info:
; codeLenInByte = 2352
; NumSgprs: 40
; NumVgprs: 60
; NumAgprs: 0
; TotalNumVgprs: 60
; ScratchSize: 0
; MemoryBound: 1
; FloatMode: 240
; IeeeMode: 1
; LDSByteSize: 0 bytes/workgroup (compile time only)
; SGPRBlocks: 4
; VGPRBlocks: 7
; NumSGPRsForWavesPerEU: 40
; NumVGPRsForWavesPerEU: 60
; AccumOffset: 60
; Occupancy: 8
; WaveLimiterHint : 0
; COMPUTE_PGM_RSRC2:SCRATCH_EN: 0
; COMPUTE_PGM_RSRC2:USER_SGPR: 6
; COMPUTE_PGM_RSRC2:TRAP_HANDLER: 0
; COMPUTE_PGM_RSRC2:TGID_X_EN: 1
; COMPUTE_PGM_RSRC2:TGID_Y_EN: 0
; COMPUTE_PGM_RSRC2:TGID_Z_EN: 0
; COMPUTE_PGM_RSRC2:TIDIG_COMP_CNT: 0
; COMPUTE_PGM_RSRC3_GFX90A:ACCUM_OFFSET: 14
; COMPUTE_PGM_RSRC3_GFX90A:TG_SPLIT: 0
	.section	.text._ZN2at6native12_GLOBAL__N_125multi_tensor_apply_kernelINS1_18TensorListMetadataILi3EEENS1_22TernaryOpScalarFunctorIN3c104HalfELi3ELi2ELi2EEEJNS0_11LerpFunctorIfEEfEEEvT_T0_DpT1_,"axG",@progbits,_ZN2at6native12_GLOBAL__N_125multi_tensor_apply_kernelINS1_18TensorListMetadataILi3EEENS1_22TernaryOpScalarFunctorIN3c104HalfELi3ELi2ELi2EEEJNS0_11LerpFunctorIfEEfEEEvT_T0_DpT1_,comdat
	.globl	_ZN2at6native12_GLOBAL__N_125multi_tensor_apply_kernelINS1_18TensorListMetadataILi3EEENS1_22TernaryOpScalarFunctorIN3c104HalfELi3ELi2ELi2EEEJNS0_11LerpFunctorIfEEfEEEvT_T0_DpT1_ ; -- Begin function _ZN2at6native12_GLOBAL__N_125multi_tensor_apply_kernelINS1_18TensorListMetadataILi3EEENS1_22TernaryOpScalarFunctorIN3c104HalfELi3ELi2ELi2EEEJNS0_11LerpFunctorIfEEfEEEvT_T0_DpT1_
	.p2align	8
	.type	_ZN2at6native12_GLOBAL__N_125multi_tensor_apply_kernelINS1_18TensorListMetadataILi3EEENS1_22TernaryOpScalarFunctorIN3c104HalfELi3ELi2ELi2EEEJNS0_11LerpFunctorIfEEfEEEvT_T0_DpT1_,@function
_ZN2at6native12_GLOBAL__N_125multi_tensor_apply_kernelINS1_18TensorListMetadataILi3EEENS1_22TernaryOpScalarFunctorIN3c104HalfELi3ELi2ELi2EEEJNS0_11LerpFunctorIfEEfEEEvT_T0_DpT1_: ; @_ZN2at6native12_GLOBAL__N_125multi_tensor_apply_kernelINS1_18TensorListMetadataILi3EEENS1_22TernaryOpScalarFunctorIN3c104HalfELi3ELi2ELi2EEEJNS0_11LerpFunctorIfEEfEEEvT_T0_DpT1_
; %bb.0:
	v_mov_b32_e32 v1, s6
	global_load_ubyte v1, v1, s[4:5] offset:1536
	s_add_u32 s0, s4, s6
	s_mul_hi_u32 s1, s6, 3
	s_mul_i32 s6, s6, 3
	s_addc_u32 s2, s5, 0
	s_add_u32 s0, s0, s6
	s_addc_u32 s1, s2, s1
	s_load_dword s2, s[0:1], 0x740
	s_load_dword s24, s[4:5], 0xc4c
	s_mov_b32 s1, 0
	s_mov_b32 s7, s1
	s_waitcnt lgkmcnt(0)
	s_ashr_i32 s3, s2, 31
	s_lshl_b64 s[10:11], s[2:3], 17
	s_waitcnt vmcnt(0)
	v_readfirstlane_b32 s0, v1
	s_lshl_b32 s0, s0, 3
	s_load_dwordx2 s[18:19], s[4:5], s0 offset:0x0
	s_load_dwordx2 s[16:17], s[4:5], s0 offset:0x180
	;; [unrolled: 1-line block ×4, first 2 shown]
	s_waitcnt lgkmcnt(0)
	s_add_u32 s25, s18, s10
	s_addc_u32 s26, s19, s11
	s_and_b32 s0, s25, 7
	s_add_u32 s27, s16, s10
	s_addc_u32 s28, s17, s11
	s_add_u32 s29, s8, s10
	s_addc_u32 s30, s9, s11
	s_or_b32 s6, s29, s27
	s_and_b32 s6, s6, 7
	s_cmp_lg_u32 s6, 0
	s_cselect_b64 s[20:21], -1, 0
	s_lshl_b64 s[2:3], s[2:3], 16
	s_sub_u32 s12, s14, s2
	s_subb_u32 s13, s15, s3
	s_and_b32 s6, s14, 3
	s_or_b64 s[2:3], s[0:1], s[6:7]
	s_cmp_lg_u64 s[2:3], 0
	s_cselect_b64 s[2:3], -1, 0
	s_or_b64 s[2:3], s[20:21], s[2:3]
	s_andn2_b64 vcc, exec, s[2:3]
	s_mov_b64 s[2:3], -1
	s_cbranch_vccz .LBB16_5
; %bb.1:
	v_mov_b32_e32 v3, 0
	v_lshlrev_b32_e32 v2, 2, v0
	v_cmp_gt_i64_e32 vcc, s[12:13], v[2:3]
	s_and_saveexec_b64 s[14:15], vcc
	s_cbranch_execz .LBB16_4
; %bb.2:
	s_load_dword s0, s[4:5], 0xc5c
	v_cmp_lt_f32_e64 vcc, |s24|, 0.5
	v_sub_f32_e64 v1, 1.0, s24
	v_lshlrev_b32_e32 v4, 3, v0
	s_mov_b64 s[20:21], 0
	s_waitcnt lgkmcnt(0)
	s_and_b32 s0, s0, 0xffff
	v_add_lshl_u32 v2, v0, s0, 2
	s_lshl_b32 s31, s0, 2
	s_lshl_b32 s33, s0, 3
	s_mov_b64 s[22:23], 0xffff
	v_mov_b32_e32 v5, s1
.LBB16_3:                               ; =>This Inner Loop Header: Depth=1
	v_mov_b32_e32 v7, s26
	v_add_co_u32_e64 v8, s[2:3], s25, v4
	v_mov_b32_e32 v10, s28
	v_add_co_u32_e64 v6, s[0:1], s27, v4
	v_addc_co_u32_e64 v9, s[2:3], 0, v7, s[2:3]
	v_addc_co_u32_e64 v7, s[0:1], 0, v10, s[0:1]
	global_load_dwordx2 v[10:11], v[8:9], off
	global_load_dwordx2 v[12:13], v[6:7], off
	v_cmp_le_i64_e64 s[0:1], s[12:13], v[2:3]
	v_cmp_lt_u64_e64 s[2:3], s[22:23], v[2:3]
	s_or_b64 s[0:1], s[0:1], s[2:3]
	v_add_co_u32_e64 v2, s[6:7], s31, v2
	s_add_u32 s25, s25, s33
	v_addc_co_u32_e64 v3, s[6:7], v3, v5, s[6:7]
	s_addc_u32 s26, s26, 0
	v_add_co_u32_e64 v6, s[6:7], s29, v4
	s_add_u32 s29, s29, s33
	v_mov_b32_e32 v7, s30
	s_addc_u32 s30, s30, 0
	s_add_u32 s27, s27, s33
	s_addc_u32 s28, s28, 0
	s_and_b64 s[0:1], exec, s[0:1]
	v_addc_co_u32_e64 v7, s[6:7], 0, v7, s[6:7]
	s_or_b64 s[20:21], s[0:1], s[20:21]
	s_waitcnt vmcnt(1)
	v_cvt_f32_f16_e32 v8, v10
	s_waitcnt vmcnt(0)
	v_cvt_f32_f16_e32 v9, v12
	v_cvt_f32_f16_sdwa v14, v10 dst_sel:DWORD dst_unused:UNUSED_PAD src0_sel:WORD_1
	v_cvt_f32_f16_sdwa v15, v12 dst_sel:DWORD dst_unused:UNUSED_PAD src0_sel:WORD_1
	v_cvt_f32_f16_e32 v16, v11
	v_cvt_f32_f16_e32 v17, v13
	v_cvt_f32_f16_sdwa v18, v11 dst_sel:DWORD dst_unused:UNUSED_PAD src0_sel:WORD_1
	v_cvt_f32_f16_sdwa v19, v13 dst_sel:DWORD dst_unused:UNUSED_PAD src0_sel:WORD_1
	v_sub_f32_e32 v8, v9, v8
	v_sub_f32_e32 v9, v15, v14
	;; [unrolled: 1-line block ×4, first 2 shown]
	v_fma_mix_f32 v16, v8, s24, v10 op_sel_hi:[0,0,1]
	v_fma_mix_f32 v8, -v1, v8, v12 op_sel_hi:[0,0,1]
	v_fma_mix_f32 v10, v9, s24, v10 op_sel:[0,0,1] op_sel_hi:[0,0,1]
	v_fma_mix_f32 v9, -v1, v9, v12 op_sel:[0,0,1] op_sel_hi:[0,0,1]
	v_fma_mix_f32 v12, v14, s24, v11 op_sel_hi:[0,0,1]
	v_fma_mix_f32 v14, -v1, v14, v13 op_sel_hi:[0,0,1]
	v_fma_mix_f32 v11, v15, s24, v11 op_sel:[0,0,1] op_sel_hi:[0,0,1]
	v_fma_mix_f32 v13, -v1, v15, v13 op_sel:[0,0,1] op_sel_hi:[0,0,1]
	v_cndmask_b32_e32 v8, v8, v16, vcc
	v_cndmask_b32_e32 v9, v9, v10, vcc
	;; [unrolled: 1-line block ×4, first 2 shown]
	v_cvt_f16_f32_e32 v8, v8
	v_cvt_f16_f32_e32 v10, v10
	;; [unrolled: 1-line block ×4, first 2 shown]
	v_pack_b32_f16 v9, v10, v11
	v_pack_b32_f16 v8, v8, v12
	global_store_dwordx2 v[6:7], v[8:9], off
	s_andn2_b64 exec, exec, s[20:21]
	s_cbranch_execnz .LBB16_3
.LBB16_4:
	s_or_b64 exec, exec, s[14:15]
	s_mov_b64 s[2:3], 0
.LBB16_5:
	s_andn2_b64 vcc, exec, s[2:3]
	s_cbranch_vccnz .LBB16_25
; %bb.6:
	v_cmp_lt_i64_e64 s[0:1], s[12:13], 1
	s_and_b64 vcc, exec, s[0:1]
	s_cbranch_vccnz .LBB16_25
; %bb.7:
	s_load_dword s0, s[4:5], 0xc5c
	v_mov_b32_e32 v2, 0x10000
	v_mov_b32_e32 v3, 0
	v_cmp_lt_u64_e32 vcc, s[12:13], v[2:3]
	v_lshlrev_b32_e32 v14, 1, v0
	s_waitcnt lgkmcnt(0)
	s_and_b32 s4, s0, 0xffff
	s_and_b64 s[0:1], vcc, exec
	v_mov_b32_e32 v19, s19
	v_add_co_u32_e32 v2, vcc, s18, v14
	v_addc_co_u32_e32 v1, vcc, 0, v19, vcc
	v_mov_b32_e32 v21, s17
	v_add_co_u32_e32 v4, vcc, s16, v14
	v_addc_co_u32_e32 v3, vcc, 0, v21, vcc
	v_mov_b32_e32 v15, 0
	v_mov_b32_e32 v23, s9
	v_add_co_u32_e32 v6, vcc, s8, v14
	v_addc_co_u32_e32 v5, vcc, 0, v23, vcc
	v_mad_u64_u32 v[12:13], s[2:3], s4, 6, v[14:15]
	v_add_co_u32_e32 v8, vcc, s18, v12
	v_addc_co_u32_e32 v7, vcc, v19, v13, vcc
	v_add_co_u32_e32 v10, vcc, s16, v12
	v_addc_co_u32_e32 v9, vcc, v21, v13, vcc
	v_add_co_u32_e32 v12, vcc, s8, v12
	s_mul_i32 s6, s4, 3
	v_addc_co_u32_e32 v11, vcc, v23, v13, vcc
	s_cselect_b32 s15, s13, 0
	s_cselect_b32 s14, s12, 0x10000
	s_lshl_b32 s21, s4, 2
	v_add_co_u32_e32 v26, vcc, s6, v0
	v_addc_co_u32_e64 v27, s[2:3], 0, 0, vcc
	v_add_co_u32_e32 v17, vcc, s21, v14
	v_addc_co_u32_e64 v20, s[2:3], 0, 0, vcc
	v_add_co_u32_e32 v14, vcc, s18, v17
	v_addc_co_u32_e32 v13, vcc, v19, v20, vcc
	v_add_co_u32_e32 v16, vcc, s16, v17
	v_addc_co_u32_e32 v15, vcc, v21, v20, vcc
	v_add_co_u32_e32 v18, vcc, s8, v17
	s_lshl_b32 s5, s4, 1
	v_addc_co_u32_e32 v17, vcc, v23, v20, vcc
	v_add_co_u32_e32 v28, vcc, s5, v0
	v_addc_co_u32_e64 v29, s[2:3], 0, 0, vcc
	v_add_co_u32_e32 v30, vcc, s4, v0
	v_lshlrev_b32_e32 v24, 1, v30
	v_addc_co_u32_e64 v31, s[2:3], 0, 0, vcc
	v_add_co_u32_e32 v20, vcc, s18, v24
	v_addc_co_u32_e32 v19, vcc, 0, v19, vcc
	v_add_co_u32_e32 v22, vcc, s16, v24
	v_addc_co_u32_e32 v21, vcc, 0, v21, vcc
	v_add_co_u32_e32 v24, vcc, s8, v24
	s_mov_b32 s20, 0
	v_cmp_lt_f32_e64 s[0:1], |s24|, 0.5
	v_sub_f32_e64 v25, 1.0, s24
	s_lshl_b32 s22, s4, 3
	v_addc_co_u32_e32 v23, vcc, 0, v23, vcc
	s_mov_b64 s[16:17], 0
	s_branch .LBB16_9
.LBB16_8:                               ;   in Loop: Header=BB16_9 Depth=1
	s_or_b64 exec, exec, s[2:3]
	s_add_u32 s16, s16, s21
	s_addc_u32 s17, s17, 0
	s_waitcnt vmcnt(1)
	v_pk_mov_b32 v[32:33], s[12:13], s[12:13] op_sel:[0,1]
	v_cmp_ge_i64_e32 vcc, s[16:17], v[32:33]
	v_mov_b32_e32 v32, 0xffff
	v_mov_b32_e32 v33, 0
	v_cmp_gt_u64_e64 s[2:3], s[16:17], v[32:33]
	s_or_b64 s[2:3], vcc, s[2:3]
	v_mov_b32_e32 v32, s20
	v_add_co_u32_e32 v2, vcc, s22, v2
	v_addc_co_u32_e32 v1, vcc, v1, v32, vcc
	v_add_co_u32_e32 v4, vcc, s22, v4
	v_addc_co_u32_e32 v3, vcc, v3, v32, vcc
	;; [unrolled: 2-line block ×12, first 2 shown]
	s_and_b64 vcc, exec, s[2:3]
	s_cbranch_vccnz .LBB16_25
.LBB16_9:                               ; =>This Inner Loop Header: Depth=1
	v_mov_b32_e32 v33, s17
	v_add_co_u32_e32 v32, vcc, s16, v0
	v_addc_co_u32_e32 v33, vcc, 0, v33, vcc
	v_cmp_gt_u64_e32 vcc, s[14:15], v[32:33]
	v_mov_b32_e32 v33, 0
	s_waitcnt vmcnt(0)
	v_mov_b32_e32 v34, 0
	s_and_saveexec_b64 s[4:5], vcc
	s_cbranch_execz .LBB16_11
; %bb.10:                               ;   in Loop: Header=BB16_9 Depth=1
	v_mov_b32_e32 v32, s11
	v_add_co_u32_e64 v36, s[2:3], s10, v4
	v_addc_co_u32_e64 v37, s[2:3], v3, v32, s[2:3]
	v_add_co_u32_e64 v38, s[2:3], s10, v2
	v_addc_co_u32_e64 v39, s[2:3], v1, v32, s[2:3]
	global_load_ushort v33, v[38:39], off
	global_load_ushort v34, v[36:37], off
.LBB16_11:                              ;   in Loop: Header=BB16_9 Depth=1
	s_or_b64 exec, exec, s[4:5]
	v_mov_b32_e32 v32, s17
	v_add_co_u32_e64 v36, s[2:3], s16, v30
	v_addc_co_u32_e64 v37, s[2:3], v31, v32, s[2:3]
	v_cmp_gt_u64_e64 s[2:3], s[14:15], v[36:37]
	v_mov_b32_e32 v32, 0
	v_mov_b32_e32 v35, 0
	;; [unrolled: 1-line block ×3, first 2 shown]
	s_and_saveexec_b64 s[6:7], s[2:3]
	s_cbranch_execz .LBB16_13
; %bb.12:                               ;   in Loop: Header=BB16_9 Depth=1
	v_mov_b32_e32 v35, s11
	v_add_co_u32_e64 v38, s[4:5], s10, v22
	v_addc_co_u32_e64 v39, s[4:5], v21, v35, s[4:5]
	v_add_co_u32_e64 v40, s[4:5], s10, v20
	v_addc_co_u32_e64 v41, s[4:5], v19, v35, s[4:5]
	global_load_ushort v35, v[40:41], off
	global_load_ushort v36, v[38:39], off
.LBB16_13:                              ;   in Loop: Header=BB16_9 Depth=1
	s_or_b64 exec, exec, s[6:7]
	v_mov_b32_e32 v37, s17
	v_add_co_u32_e64 v38, s[4:5], s16, v28
	v_addc_co_u32_e64 v39, s[4:5], v29, v37, s[4:5]
	v_cmp_gt_u64_e64 s[4:5], s[14:15], v[38:39]
	v_mov_b32_e32 v37, 0
	s_and_saveexec_b64 s[8:9], s[4:5]
	s_cbranch_execz .LBB16_15
; %bb.14:                               ;   in Loop: Header=BB16_9 Depth=1
	v_mov_b32_e32 v32, s11
	v_add_co_u32_e64 v38, s[6:7], s10, v16
	v_addc_co_u32_e64 v39, s[6:7], v15, v32, s[6:7]
	v_add_co_u32_e64 v40, s[6:7], s10, v14
	v_addc_co_u32_e64 v41, s[6:7], v13, v32, s[6:7]
	global_load_ushort v32, v[40:41], off
	global_load_ushort v37, v[38:39], off
.LBB16_15:                              ;   in Loop: Header=BB16_9 Depth=1
	s_or_b64 exec, exec, s[8:9]
	v_mov_b32_e32 v39, s17
	v_add_co_u32_e64 v38, s[6:7], s16, v26
	v_addc_co_u32_e64 v39, s[6:7], v27, v39, s[6:7]
	v_cmp_gt_u64_e64 s[6:7], s[14:15], v[38:39]
	v_mov_b32_e32 v38, 0
	v_mov_b32_e32 v39, 0
	s_and_saveexec_b64 s[18:19], s[6:7]
	s_cbranch_execnz .LBB16_20
; %bb.16:                               ;   in Loop: Header=BB16_9 Depth=1
	s_or_b64 exec, exec, s[18:19]
	s_and_saveexec_b64 s[8:9], vcc
	s_cbranch_execnz .LBB16_21
.LBB16_17:                              ;   in Loop: Header=BB16_9 Depth=1
	s_or_b64 exec, exec, s[8:9]
	s_and_saveexec_b64 s[8:9], s[2:3]
	s_cbranch_execnz .LBB16_22
.LBB16_18:                              ;   in Loop: Header=BB16_9 Depth=1
	s_or_b64 exec, exec, s[8:9]
	s_and_saveexec_b64 s[2:3], s[4:5]
	s_cbranch_execnz .LBB16_23
.LBB16_19:                              ;   in Loop: Header=BB16_9 Depth=1
	s_or_b64 exec, exec, s[2:3]
	s_and_saveexec_b64 s[2:3], s[6:7]
	s_cbranch_execz .LBB16_8
	s_branch .LBB16_24
.LBB16_20:                              ;   in Loop: Header=BB16_9 Depth=1
	v_mov_b32_e32 v38, s11
	v_add_co_u32_e64 v40, s[8:9], s10, v10
	v_addc_co_u32_e64 v41, s[8:9], v9, v38, s[8:9]
	v_add_co_u32_e64 v42, s[8:9], s10, v8
	v_addc_co_u32_e64 v43, s[8:9], v7, v38, s[8:9]
	global_load_ushort v38, v[42:43], off
	global_load_ushort v39, v[40:41], off
	s_or_b64 exec, exec, s[18:19]
	s_and_saveexec_b64 s[8:9], vcc
	s_cbranch_execz .LBB16_17
.LBB16_21:                              ;   in Loop: Header=BB16_9 Depth=1
	s_waitcnt vmcnt(0)
	v_cvt_f32_f16_e32 v40, v34
	v_cvt_f32_f16_e32 v41, v33
	v_mov_b32_e32 v42, s11
	v_sub_f32_e32 v40, v40, v41
	v_fma_mix_f32 v33, v40, s24, v33 op_sel_hi:[0,0,1]
	v_fma_mix_f32 v34, -v25, v40, v34 op_sel_hi:[0,0,1]
	v_cndmask_b32_e64 v33, v34, v33, s[0:1]
	v_cvt_f16_f32_e32 v33, v33
	v_add_co_u32_e32 v40, vcc, s10, v6
	v_addc_co_u32_e32 v41, vcc, v5, v42, vcc
	global_store_short v[40:41], v33, off
	s_or_b64 exec, exec, s[8:9]
	s_and_saveexec_b64 s[8:9], s[2:3]
	s_cbranch_execz .LBB16_18
.LBB16_22:                              ;   in Loop: Header=BB16_9 Depth=1
	s_waitcnt vmcnt(1)
	v_cvt_f32_f16_e32 v33, v35
	s_waitcnt vmcnt(0)
	v_cvt_f32_f16_e32 v34, v36
	v_mov_b32_e32 v40, s11
	v_sub_f32_e32 v33, v34, v33
	v_fma_mix_f32 v34, v33, s24, v35 op_sel_hi:[0,0,1]
	v_fma_mix_f32 v33, -v25, v33, v36 op_sel_hi:[0,0,1]
	v_cndmask_b32_e64 v33, v33, v34, s[0:1]
	v_cvt_f16_f32_e32 v33, v33
	v_add_co_u32_e32 v34, vcc, s10, v24
	v_addc_co_u32_e32 v35, vcc, v23, v40, vcc
	global_store_short v[34:35], v33, off
	s_or_b64 exec, exec, s[8:9]
	s_and_saveexec_b64 s[2:3], s[4:5]
	s_cbranch_execz .LBB16_19
.LBB16_23:                              ;   in Loop: Header=BB16_9 Depth=1
	s_waitcnt vmcnt(1)
	v_cvt_f32_f16_e32 v33, v32
	s_waitcnt vmcnt(0)
	v_cvt_f32_f16_e32 v34, v37
	v_mov_b32_e32 v35, s11
	v_sub_f32_e32 v33, v34, v33
	v_fma_mix_f32 v32, v33, s24, v32 op_sel_hi:[0,0,1]
	v_fma_mix_f32 v33, -v25, v33, v37 op_sel_hi:[0,0,1]
	v_cndmask_b32_e64 v32, v33, v32, s[0:1]
	v_cvt_f16_f32_e32 v34, v32
	v_add_co_u32_e32 v32, vcc, s10, v18
	v_addc_co_u32_e32 v33, vcc, v17, v35, vcc
	global_store_short v[32:33], v34, off
	s_or_b64 exec, exec, s[2:3]
	s_and_saveexec_b64 s[2:3], s[6:7]
	s_cbranch_execz .LBB16_8
.LBB16_24:                              ;   in Loop: Header=BB16_9 Depth=1
	s_waitcnt vmcnt(1)
	v_cvt_f32_f16_e32 v32, v38
	s_waitcnt vmcnt(0)
	v_cvt_f32_f16_e32 v33, v39
	v_mov_b32_e32 v34, s11
	v_sub_f32_e32 v32, v33, v32
	v_fma_mix_f32 v33, v32, s24, v38 op_sel_hi:[0,0,1]
	v_fma_mix_f32 v32, -v25, v32, v39 op_sel_hi:[0,0,1]
	v_cndmask_b32_e64 v32, v32, v33, s[0:1]
	v_cvt_f16_f32_e32 v35, v32
	v_add_co_u32_e32 v32, vcc, s10, v12
	v_addc_co_u32_e32 v33, vcc, v11, v34, vcc
	global_store_short v[32:33], v35, off
	s_branch .LBB16_8
.LBB16_25:
	s_endpgm
	.section	.rodata,"a",@progbits
	.p2align	6, 0x0
	.amdhsa_kernel _ZN2at6native12_GLOBAL__N_125multi_tensor_apply_kernelINS1_18TensorListMetadataILi3EEENS1_22TernaryOpScalarFunctorIN3c104HalfELi3ELi2ELi2EEEJNS0_11LerpFunctorIfEEfEEEvT_T0_DpT1_
		.amdhsa_group_segment_fixed_size 0
		.amdhsa_private_segment_fixed_size 0
		.amdhsa_kernarg_size 3408
		.amdhsa_user_sgpr_count 6
		.amdhsa_user_sgpr_private_segment_buffer 1
		.amdhsa_user_sgpr_dispatch_ptr 0
		.amdhsa_user_sgpr_queue_ptr 0
		.amdhsa_user_sgpr_kernarg_segment_ptr 1
		.amdhsa_user_sgpr_dispatch_id 0
		.amdhsa_user_sgpr_flat_scratch_init 0
		.amdhsa_user_sgpr_kernarg_preload_length 0
		.amdhsa_user_sgpr_kernarg_preload_offset 0
		.amdhsa_user_sgpr_private_segment_size 0
		.amdhsa_uses_dynamic_stack 0
		.amdhsa_system_sgpr_private_segment_wavefront_offset 0
		.amdhsa_system_sgpr_workgroup_id_x 1
		.amdhsa_system_sgpr_workgroup_id_y 0
		.amdhsa_system_sgpr_workgroup_id_z 0
		.amdhsa_system_sgpr_workgroup_info 0
		.amdhsa_system_vgpr_workitem_id 0
		.amdhsa_next_free_vgpr 44
		.amdhsa_next_free_sgpr 34
		.amdhsa_accum_offset 44
		.amdhsa_reserve_vcc 1
		.amdhsa_reserve_flat_scratch 0
		.amdhsa_float_round_mode_32 0
		.amdhsa_float_round_mode_16_64 0
		.amdhsa_float_denorm_mode_32 3
		.amdhsa_float_denorm_mode_16_64 3
		.amdhsa_dx10_clamp 1
		.amdhsa_ieee_mode 1
		.amdhsa_fp16_overflow 0
		.amdhsa_tg_split 0
		.amdhsa_exception_fp_ieee_invalid_op 0
		.amdhsa_exception_fp_denorm_src 0
		.amdhsa_exception_fp_ieee_div_zero 0
		.amdhsa_exception_fp_ieee_overflow 0
		.amdhsa_exception_fp_ieee_underflow 0
		.amdhsa_exception_fp_ieee_inexact 0
		.amdhsa_exception_int_div_zero 0
	.end_amdhsa_kernel
	.section	.text._ZN2at6native12_GLOBAL__N_125multi_tensor_apply_kernelINS1_18TensorListMetadataILi3EEENS1_22TernaryOpScalarFunctorIN3c104HalfELi3ELi2ELi2EEEJNS0_11LerpFunctorIfEEfEEEvT_T0_DpT1_,"axG",@progbits,_ZN2at6native12_GLOBAL__N_125multi_tensor_apply_kernelINS1_18TensorListMetadataILi3EEENS1_22TernaryOpScalarFunctorIN3c104HalfELi3ELi2ELi2EEEJNS0_11LerpFunctorIfEEfEEEvT_T0_DpT1_,comdat
.Lfunc_end16:
	.size	_ZN2at6native12_GLOBAL__N_125multi_tensor_apply_kernelINS1_18TensorListMetadataILi3EEENS1_22TernaryOpScalarFunctorIN3c104HalfELi3ELi2ELi2EEEJNS0_11LerpFunctorIfEEfEEEvT_T0_DpT1_, .Lfunc_end16-_ZN2at6native12_GLOBAL__N_125multi_tensor_apply_kernelINS1_18TensorListMetadataILi3EEENS1_22TernaryOpScalarFunctorIN3c104HalfELi3ELi2ELi2EEEJNS0_11LerpFunctorIfEEfEEEvT_T0_DpT1_
                                        ; -- End function
	.section	.AMDGPU.csdata,"",@progbits
; Kernel info:
; codeLenInByte = 1872
; NumSgprs: 38
; NumVgprs: 44
; NumAgprs: 0
; TotalNumVgprs: 44
; ScratchSize: 0
; MemoryBound: 0
; FloatMode: 240
; IeeeMode: 1
; LDSByteSize: 0 bytes/workgroup (compile time only)
; SGPRBlocks: 4
; VGPRBlocks: 5
; NumSGPRsForWavesPerEU: 38
; NumVGPRsForWavesPerEU: 44
; AccumOffset: 44
; Occupancy: 8
; WaveLimiterHint : 0
; COMPUTE_PGM_RSRC2:SCRATCH_EN: 0
; COMPUTE_PGM_RSRC2:USER_SGPR: 6
; COMPUTE_PGM_RSRC2:TRAP_HANDLER: 0
; COMPUTE_PGM_RSRC2:TGID_X_EN: 1
; COMPUTE_PGM_RSRC2:TGID_Y_EN: 0
; COMPUTE_PGM_RSRC2:TGID_Z_EN: 0
; COMPUTE_PGM_RSRC2:TIDIG_COMP_CNT: 0
; COMPUTE_PGM_RSRC3_GFX90A:ACCUM_OFFSET: 10
; COMPUTE_PGM_RSRC3_GFX90A:TG_SPLIT: 0
	.section	.text._ZN2at6native12_GLOBAL__N_125multi_tensor_apply_kernelINS1_18TensorListMetadataILi3EEENS1_22TernaryOpScalarFunctorIN3c108BFloat16ELi3ELi2ELi2EEEJNS0_11LerpFunctorIfEEfEEEvT_T0_DpT1_,"axG",@progbits,_ZN2at6native12_GLOBAL__N_125multi_tensor_apply_kernelINS1_18TensorListMetadataILi3EEENS1_22TernaryOpScalarFunctorIN3c108BFloat16ELi3ELi2ELi2EEEJNS0_11LerpFunctorIfEEfEEEvT_T0_DpT1_,comdat
	.globl	_ZN2at6native12_GLOBAL__N_125multi_tensor_apply_kernelINS1_18TensorListMetadataILi3EEENS1_22TernaryOpScalarFunctorIN3c108BFloat16ELi3ELi2ELi2EEEJNS0_11LerpFunctorIfEEfEEEvT_T0_DpT1_ ; -- Begin function _ZN2at6native12_GLOBAL__N_125multi_tensor_apply_kernelINS1_18TensorListMetadataILi3EEENS1_22TernaryOpScalarFunctorIN3c108BFloat16ELi3ELi2ELi2EEEJNS0_11LerpFunctorIfEEfEEEvT_T0_DpT1_
	.p2align	8
	.type	_ZN2at6native12_GLOBAL__N_125multi_tensor_apply_kernelINS1_18TensorListMetadataILi3EEENS1_22TernaryOpScalarFunctorIN3c108BFloat16ELi3ELi2ELi2EEEJNS0_11LerpFunctorIfEEfEEEvT_T0_DpT1_,@function
_ZN2at6native12_GLOBAL__N_125multi_tensor_apply_kernelINS1_18TensorListMetadataILi3EEENS1_22TernaryOpScalarFunctorIN3c108BFloat16ELi3ELi2ELi2EEEJNS0_11LerpFunctorIfEEfEEEvT_T0_DpT1_: ; @_ZN2at6native12_GLOBAL__N_125multi_tensor_apply_kernelINS1_18TensorListMetadataILi3EEENS1_22TernaryOpScalarFunctorIN3c108BFloat16ELi3ELi2ELi2EEEJNS0_11LerpFunctorIfEEfEEEvT_T0_DpT1_
; %bb.0:
	v_mov_b32_e32 v1, s6
	global_load_ubyte v1, v1, s[4:5] offset:1536
	s_load_dword s24, s[4:5], 0xc4c
	s_add_u32 s0, s4, s6
	s_mul_hi_u32 s2, s6, 3
	s_mul_i32 s6, s6, 3
	s_addc_u32 s7, s5, 0
	s_add_u32 s6, s0, s6
	s_addc_u32 s7, s7, s2
	s_load_dword s6, s[6:7], 0x740
	s_mov_b32 s3, 0
	s_mov_b32 s1, s3
	s_waitcnt lgkmcnt(0)
	s_ashr_i32 s7, s6, 31
	s_lshl_b64 s[10:11], s[6:7], 17
	s_waitcnt vmcnt(0)
	v_readfirstlane_b32 s0, v1
	s_lshl_b32 s0, s0, 3
	s_load_dwordx2 s[18:19], s[4:5], s0 offset:0x0
	s_load_dwordx2 s[16:17], s[4:5], s0 offset:0x180
	;; [unrolled: 1-line block ×4, first 2 shown]
	s_waitcnt lgkmcnt(0)
	s_and_b32 s2, s18, 7
	s_add_u32 s0, s16, s10
	s_or_b32 s0, s8, s0
	s_and_b32 s0, s0, 7
	s_cmp_lg_u32 s0, 0
	s_cselect_b64 s[20:21], -1, 0
	s_lshl_b64 s[6:7], s[6:7], 16
	s_sub_u32 s12, s14, s6
	s_subb_u32 s13, s15, s7
	s_and_b32 s0, s14, 3
	s_or_b64 s[0:1], s[2:3], s[0:1]
	s_cmp_lg_u64 s[0:1], 0
	s_cselect_b64 s[0:1], -1, 0
	s_or_b64 s[0:1], s[20:21], s[0:1]
	s_andn2_b64 vcc, exec, s[0:1]
	s_mov_b64 s[0:1], -1
	s_cbranch_vccz .LBB17_5
; %bb.1:
	v_mov_b32_e32 v3, 0
	v_lshlrev_b32_e32 v2, 2, v0
	v_cmp_gt_i64_e32 vcc, s[12:13], v[2:3]
	s_and_saveexec_b64 s[14:15], vcc
	s_cbranch_execz .LBB17_4
; %bb.2:
	s_load_dword s0, s[4:5], 0xc5c
	v_lshlrev_b32_e32 v1, 3, v0
	v_mov_b32_e32 v2, s11
	v_cmp_lt_f32_e64 vcc, |s24|, 0.5
	v_sub_f32_e64 v5, 1.0, s24
	s_waitcnt lgkmcnt(0)
	s_and_b32 s2, s0, 0xffff
	v_add_co_u32_e64 v4, s[0:1], s10, v1
	v_addc_co_u32_e64 v1, s[0:1], 0, v2, s[0:1]
	s_lshl_b32 s25, s2, 3
	v_add_lshl_u32 v2, v0, s2, 2
	s_lshl_b32 s26, s2, 2
	s_mov_b64 s[20:21], 0
	v_mov_b32_e32 v6, s19
	v_mov_b32_e32 v7, s17
	s_movk_i32 s27, 0x7fff
	v_mov_b32_e32 v8, 0x7fc0
	v_mov_b32_e32 v9, 0x7fc00000
	;; [unrolled: 1-line block ×3, first 2 shown]
	s_mov_b64 s[22:23], 0xffff
	v_mov_b32_e32 v11, s3
	v_mov_b32_e32 v12, s3
.LBB17_3:                               ; =>This Inner Loop Header: Depth=1
	v_add_co_u32_e64 v14, s[0:1], s18, v4
	v_addc_co_u32_e64 v15, s[0:1], v6, v1, s[0:1]
	v_add_co_u32_e64 v16, s[0:1], s16, v4
	v_addc_co_u32_e64 v17, s[0:1], v7, v1, s[0:1]
	global_load_dwordx2 v[18:19], v[14:15], off
	global_load_dwordx2 v[20:21], v[16:17], off
	v_add_co_u32_e64 v14, s[0:1], s8, v4
	v_addc_co_u32_e64 v15, s[0:1], v10, v1, s[0:1]
	v_add_co_u32_e64 v4, s[6:7], s25, v4
	v_cmp_le_i64_e64 s[0:1], s[12:13], v[2:3]
	v_cmp_lt_u64_e64 s[2:3], s[22:23], v[2:3]
	v_addc_co_u32_e64 v1, s[6:7], v1, v11, s[6:7]
	v_add_co_u32_e64 v2, s[6:7], s26, v2
	s_or_b64 s[0:1], s[0:1], s[2:3]
	v_addc_co_u32_e64 v3, s[6:7], v3, v12, s[6:7]
	s_and_b64 s[0:1], exec, s[0:1]
	s_or_b64 s[20:21], s[0:1], s[20:21]
	s_waitcnt vmcnt(1)
	v_lshlrev_b32_e32 v13, 16, v18
	s_waitcnt vmcnt(0)
	v_lshlrev_b32_e32 v16, 16, v20
	v_and_b32_e32 v17, 0xffff0000, v18
	v_and_b32_e32 v22, 0xffff0000, v20
	v_alignbit_b32 v18, v19, v18, 16
	v_alignbit_b32 v20, v21, v20, 16
	v_and_b32_e32 v19, 0xffff0000, v19
	v_and_b32_e32 v21, 0xffff0000, v21
	v_sub_f32_e32 v23, v16, v13
	v_sub_f32_e32 v24, v22, v17
	v_and_b32_e32 v18, 0xffff0000, v18
	v_and_b32_e32 v20, 0xffff0000, v20
	v_sub_f32_e32 v25, v21, v19
	v_fmac_f32_e32 v13, s24, v23
	v_fma_f32 v16, -v5, v23, v16
	v_fmac_f32_e32 v17, s24, v24
	v_fma_f32 v22, -v5, v24, v22
	v_sub_f32_e32 v23, v20, v18
	v_fmac_f32_e32 v19, s24, v25
	v_fma_f32 v21, -v5, v25, v21
	v_cndmask_b32_e32 v13, v16, v13, vcc
	v_cndmask_b32_e32 v16, v22, v17, vcc
	v_fmac_f32_e32 v18, s24, v23
	v_fma_f32 v17, -v5, v23, v20
	v_cndmask_b32_e32 v19, v21, v19, vcc
	v_bfe_u32 v20, v13, 16, 1
	v_bfe_u32 v21, v16, 16, 1
	v_cndmask_b32_e32 v17, v17, v18, vcc
	v_bfe_u32 v18, v19, 16, 1
	v_add3_u32 v20, v13, v20, s27
	v_add3_u32 v21, v16, v21, s27
	v_bfe_u32 v22, v17, 16, 1
	v_add3_u32 v18, v19, v18, s27
	v_lshrrev_b32_e32 v20, 16, v20
	v_and_b32_e32 v21, 0xffff0000, v21
	v_cmp_o_f32_e64 s[0:1], v16, v16
	v_add3_u32 v16, v17, v22, s27
	v_cmp_o_f32_e64 s[6:7], v13, v13
	v_and_b32_e32 v18, 0xffff0000, v18
	v_cmp_o_f32_e64 s[2:3], v19, v19
	v_cndmask_b32_e64 v13, v8, v20, s[6:7]
	v_cndmask_b32_e64 v19, v9, v21, s[0:1]
	v_lshrrev_b32_e32 v16, 16, v16
	v_cmp_o_f32_e64 s[0:1], v17, v17
	v_cndmask_b32_e64 v18, v9, v18, s[2:3]
	v_or_b32_e32 v13, v13, v19
	v_cndmask_b32_e64 v16, v8, v16, s[0:1]
	v_or3_b32 v17, 0, v16, v18
	v_or3_b32 v16, v13, 0, 0
	global_store_dwordx2 v[14:15], v[16:17], off
	s_andn2_b64 exec, exec, s[20:21]
	s_cbranch_execnz .LBB17_3
.LBB17_4:
	s_or_b64 exec, exec, s[14:15]
	s_mov_b64 s[0:1], 0
.LBB17_5:
	s_andn2_b64 vcc, exec, s[0:1]
	s_cbranch_vccnz .LBB17_25
; %bb.6:
	v_cmp_lt_i64_e64 s[0:1], s[12:13], 1
	s_and_b64 vcc, exec, s[0:1]
	s_cbranch_vccnz .LBB17_25
; %bb.7:
	s_load_dword s0, s[4:5], 0xc5c
	v_mov_b32_e32 v2, 0x10000
	v_mov_b32_e32 v3, 0
	v_cmp_lt_u64_e32 vcc, s[12:13], v[2:3]
	v_lshlrev_b32_e32 v14, 1, v0
	s_waitcnt lgkmcnt(0)
	s_and_b32 s4, s0, 0xffff
	s_and_b64 s[0:1], vcc, exec
	v_mov_b32_e32 v19, s19
	v_add_co_u32_e32 v2, vcc, s18, v14
	v_addc_co_u32_e32 v1, vcc, 0, v19, vcc
	v_mov_b32_e32 v21, s17
	v_add_co_u32_e32 v4, vcc, s16, v14
	v_addc_co_u32_e32 v3, vcc, 0, v21, vcc
	v_mov_b32_e32 v15, 0
	v_mov_b32_e32 v23, s9
	v_add_co_u32_e32 v6, vcc, s8, v14
	v_addc_co_u32_e32 v5, vcc, 0, v23, vcc
	v_mad_u64_u32 v[12:13], s[2:3], s4, 6, v[14:15]
	v_add_co_u32_e32 v8, vcc, s18, v12
	v_addc_co_u32_e32 v7, vcc, v19, v13, vcc
	v_add_co_u32_e32 v10, vcc, s16, v12
	v_addc_co_u32_e32 v9, vcc, v21, v13, vcc
	v_add_co_u32_e32 v12, vcc, s8, v12
	s_mul_i32 s6, s4, 3
	v_addc_co_u32_e32 v11, vcc, v23, v13, vcc
	s_cselect_b32 s15, s13, 0
	s_cselect_b32 s14, s12, 0x10000
	s_lshl_b32 s21, s4, 2
	v_add_co_u32_e32 v28, vcc, s6, v0
	v_addc_co_u32_e64 v29, s[2:3], 0, 0, vcc
	v_add_co_u32_e32 v17, vcc, s21, v14
	v_addc_co_u32_e64 v20, s[2:3], 0, 0, vcc
	v_add_co_u32_e32 v14, vcc, s18, v17
	v_addc_co_u32_e32 v13, vcc, v19, v20, vcc
	v_add_co_u32_e32 v16, vcc, s16, v17
	v_addc_co_u32_e32 v15, vcc, v21, v20, vcc
	v_add_co_u32_e32 v18, vcc, s8, v17
	s_lshl_b32 s5, s4, 1
	v_addc_co_u32_e32 v17, vcc, v23, v20, vcc
	v_add_co_u32_e32 v30, vcc, s5, v0
	v_addc_co_u32_e64 v31, s[2:3], 0, 0, vcc
	v_add_co_u32_e32 v32, vcc, s4, v0
	v_lshlrev_b32_e32 v24, 1, v32
	v_addc_co_u32_e64 v33, s[2:3], 0, 0, vcc
	v_add_co_u32_e32 v20, vcc, s18, v24
	v_addc_co_u32_e32 v19, vcc, 0, v19, vcc
	v_add_co_u32_e32 v22, vcc, s16, v24
	v_addc_co_u32_e32 v21, vcc, 0, v21, vcc
	v_add_co_u32_e32 v24, vcc, s8, v24
	s_mov_b32 s20, 0
	v_cmp_lt_f32_e64 s[0:1], |s24|, 0.5
	v_sub_f32_e64 v25, 1.0, s24
	s_lshl_b32 s22, s4, 3
	v_addc_co_u32_e32 v23, vcc, 0, v23, vcc
	s_mov_b64 s[16:17], 0
	s_movk_i32 s23, 0x7fff
	v_mov_b32_e32 v34, 0x7fc0
	s_branch .LBB17_9
.LBB17_8:                               ;   in Loop: Header=BB17_9 Depth=1
	s_or_b64 exec, exec, s[2:3]
	s_add_u32 s16, s16, s21
	s_addc_u32 s17, s17, 0
	v_pk_mov_b32 v[26:27], s[12:13], s[12:13] op_sel:[0,1]
	v_cmp_ge_i64_e32 vcc, s[16:17], v[26:27]
	v_mov_b32_e32 v26, 0xffff
	v_mov_b32_e32 v27, 0
	v_cmp_gt_u64_e64 s[2:3], s[16:17], v[26:27]
	s_or_b64 s[2:3], vcc, s[2:3]
	v_mov_b32_e32 v26, s20
	v_add_co_u32_e32 v2, vcc, s22, v2
	v_addc_co_u32_e32 v1, vcc, v1, v26, vcc
	v_add_co_u32_e32 v4, vcc, s22, v4
	v_addc_co_u32_e32 v3, vcc, v3, v26, vcc
	;; [unrolled: 2-line block ×12, first 2 shown]
	s_and_b64 vcc, exec, s[2:3]
	s_cbranch_vccnz .LBB17_25
.LBB17_9:                               ; =>This Inner Loop Header: Depth=1
	v_mov_b32_e32 v27, s17
	v_add_co_u32_e32 v26, vcc, s16, v0
	v_addc_co_u32_e32 v27, vcc, 0, v27, vcc
	v_cmp_gt_u64_e32 vcc, s[14:15], v[26:27]
	v_pk_mov_b32 v[26:27], 0, 0
	s_waitcnt vmcnt(0)
	v_mov_b32_e32 v36, 0
	s_and_saveexec_b64 s[4:5], vcc
	s_cbranch_execz .LBB17_11
; %bb.10:                               ;   in Loop: Header=BB17_9 Depth=1
	v_mov_b32_e32 v35, s11
	v_add_co_u32_e64 v26, s[2:3], s10, v2
	v_addc_co_u32_e64 v27, s[2:3], v1, v35, s[2:3]
	global_load_ushort v37, v[26:27], off
	v_add_co_u32_e64 v26, s[2:3], s10, v4
	v_addc_co_u32_e64 v27, s[2:3], v3, v35, s[2:3]
	global_load_ushort v36, v[26:27], off
	v_mov_b32_e32 v27, s20
	s_waitcnt vmcnt(1)
	v_and_b32_e32 v26, 0xffff, v37
.LBB17_11:                              ;   in Loop: Header=BB17_9 Depth=1
	s_or_b64 exec, exec, s[4:5]
	v_mov_b32_e32 v35, s17
	v_add_co_u32_e64 v38, s[2:3], s16, v32
	v_addc_co_u32_e64 v39, s[2:3], v33, v35, s[2:3]
	v_cmp_gt_u64_e64 s[2:3], s[14:15], v[38:39]
	v_mov_b32_e32 v35, 0
	v_mov_b32_e32 v37, 0
	s_and_saveexec_b64 s[6:7], s[2:3]
	s_cbranch_execz .LBB17_13
; %bb.12:                               ;   in Loop: Header=BB17_9 Depth=1
	v_mov_b32_e32 v37, s11
	v_add_co_u32_e64 v38, s[4:5], s10, v20
	v_addc_co_u32_e64 v39, s[4:5], v19, v37, s[4:5]
	global_load_ushort v40, v[38:39], off
	v_add_co_u32_e64 v38, s[4:5], s10, v22
	v_addc_co_u32_e64 v39, s[4:5], v21, v37, s[4:5]
	global_load_ushort v37, v[38:39], off
	s_waitcnt vmcnt(1)
	v_lshl_or_b32 v26, v40, 16, v26
.LBB17_13:                              ;   in Loop: Header=BB17_9 Depth=1
	s_or_b64 exec, exec, s[6:7]
	v_mov_b32_e32 v39, s17
	v_add_co_u32_e64 v38, s[4:5], s16, v30
	v_addc_co_u32_e64 v39, s[4:5], v31, v39, s[4:5]
	v_cmp_gt_u64_e64 s[4:5], s[14:15], v[38:39]
	s_and_saveexec_b64 s[8:9], s[4:5]
	s_cbranch_execz .LBB17_15
; %bb.14:                               ;   in Loop: Header=BB17_9 Depth=1
	v_mov_b32_e32 v35, s11
	v_add_co_u32_e64 v38, s[6:7], s10, v14
	v_addc_co_u32_e64 v39, s[6:7], v13, v35, s[6:7]
	global_load_ushort v40, v[38:39], off
	v_add_co_u32_e64 v38, s[6:7], s10, v16
	v_addc_co_u32_e64 v39, s[6:7], v15, v35, s[6:7]
	global_load_ushort v35, v[38:39], off
	s_waitcnt vmcnt(1)
	v_or_b32_e32 v27, v40, v27
.LBB17_15:                              ;   in Loop: Header=BB17_9 Depth=1
	s_or_b64 exec, exec, s[8:9]
	v_mov_b32_e32 v39, s17
	v_add_co_u32_e64 v38, s[6:7], s16, v28
	v_addc_co_u32_e64 v39, s[6:7], v29, v39, s[6:7]
	v_cmp_gt_u64_e64 s[6:7], s[14:15], v[38:39]
	v_mov_b32_e32 v38, 0
	s_and_saveexec_b64 s[18:19], s[6:7]
	s_cbranch_execnz .LBB17_20
; %bb.16:                               ;   in Loop: Header=BB17_9 Depth=1
	s_or_b64 exec, exec, s[18:19]
	s_and_saveexec_b64 s[8:9], vcc
	s_cbranch_execnz .LBB17_21
.LBB17_17:                              ;   in Loop: Header=BB17_9 Depth=1
	s_or_b64 exec, exec, s[8:9]
	s_and_saveexec_b64 s[8:9], s[2:3]
	s_cbranch_execnz .LBB17_22
.LBB17_18:                              ;   in Loop: Header=BB17_9 Depth=1
	s_or_b64 exec, exec, s[8:9]
	s_and_saveexec_b64 s[2:3], s[4:5]
	s_cbranch_execnz .LBB17_23
.LBB17_19:                              ;   in Loop: Header=BB17_9 Depth=1
	s_or_b64 exec, exec, s[2:3]
	s_and_saveexec_b64 s[2:3], s[6:7]
	s_cbranch_execz .LBB17_8
	s_branch .LBB17_24
.LBB17_20:                              ;   in Loop: Header=BB17_9 Depth=1
	v_mov_b32_e32 v40, s11
	v_add_co_u32_e64 v38, s[8:9], s10, v8
	v_addc_co_u32_e64 v39, s[8:9], v7, v40, s[8:9]
	global_load_ushort v41, v[38:39], off
	v_add_co_u32_e64 v38, s[8:9], s10, v10
	v_addc_co_u32_e64 v39, s[8:9], v9, v40, s[8:9]
	global_load_ushort v38, v[38:39], off
	s_waitcnt vmcnt(1)
	v_lshlrev_b32_e32 v39, 16, v41
	v_or_b32_e32 v27, v39, v27
	s_or_b64 exec, exec, s[18:19]
	s_and_saveexec_b64 s[8:9], vcc
	s_cbranch_execz .LBB17_17
.LBB17_21:                              ;   in Loop: Header=BB17_9 Depth=1
	v_lshlrev_b32_e32 v39, 16, v26
	s_waitcnt vmcnt(0)
	v_lshlrev_b32_e32 v36, 16, v36
	v_sub_f32_e32 v40, v36, v39
	v_fmac_f32_e32 v39, s24, v40
	v_fma_f32 v36, -v25, v40, v36
	v_cndmask_b32_e64 v36, v36, v39, s[0:1]
	v_bfe_u32 v39, v36, 16, 1
	v_mov_b32_e32 v41, s11
	v_add_co_u32_e32 v40, vcc, s10, v6
	v_add3_u32 v39, v36, v39, s23
	v_addc_co_u32_e32 v41, vcc, v5, v41, vcc
	v_lshrrev_b32_e32 v39, 16, v39
	v_cmp_o_f32_e32 vcc, v36, v36
	v_cndmask_b32_e32 v36, v34, v39, vcc
	global_store_short v[40:41], v36, off
	s_or_b64 exec, exec, s[8:9]
	s_and_saveexec_b64 s[8:9], s[2:3]
	s_cbranch_execz .LBB17_18
.LBB17_22:                              ;   in Loop: Header=BB17_9 Depth=1
	s_waitcnt vmcnt(0)
	v_and_b32_e32 v36, 0xffff0000, v26
	v_lshlrev_b32_e32 v37, 16, v37
	v_sub_f32_e32 v39, v37, v36
	v_fmac_f32_e32 v36, s24, v39
	v_fma_f32 v37, -v25, v39, v37
	v_cndmask_b32_e64 v36, v37, v36, s[0:1]
	v_bfe_u32 v37, v36, 16, 1
	v_add3_u32 v37, v36, v37, s23
	v_lshrrev_b32_e32 v37, 16, v37
	v_cmp_o_f32_e32 vcc, v36, v36
	v_cndmask_b32_e32 v39, v34, v37, vcc
	v_mov_b32_e32 v37, s11
	v_add_co_u32_e32 v36, vcc, s10, v24
	v_addc_co_u32_e32 v37, vcc, v23, v37, vcc
	global_store_short v[36:37], v39, off
	s_or_b64 exec, exec, s[8:9]
	s_and_saveexec_b64 s[2:3], s[4:5]
	s_cbranch_execz .LBB17_19
.LBB17_23:                              ;   in Loop: Header=BB17_9 Depth=1
	v_alignbit_b32 v26, v27, v26, 16
	v_and_b32_e32 v26, 0xffff0000, v26
	s_waitcnt vmcnt(0)
	v_lshlrev_b32_e32 v35, 16, v35
	v_sub_f32_e32 v36, v35, v26
	v_fmac_f32_e32 v26, s24, v36
	v_fma_f32 v35, -v25, v36, v35
	v_cndmask_b32_e64 v26, v35, v26, s[0:1]
	v_bfe_u32 v35, v26, 16, 1
	v_add3_u32 v35, v26, v35, s23
	v_lshrrev_b32_e32 v35, 16, v35
	v_cmp_o_f32_e32 vcc, v26, v26
	v_cndmask_b32_e32 v26, v34, v35, vcc
	v_mov_b32_e32 v35, s11
	v_add_co_u32_e32 v36, vcc, s10, v18
	v_addc_co_u32_e32 v37, vcc, v17, v35, vcc
	global_store_short v[36:37], v26, off
	s_or_b64 exec, exec, s[2:3]
	s_and_saveexec_b64 s[2:3], s[6:7]
	s_cbranch_execz .LBB17_8
.LBB17_24:                              ;   in Loop: Header=BB17_9 Depth=1
	v_and_b32_e32 v26, 0xffff0000, v27
	s_waitcnt vmcnt(0)
	v_lshlrev_b32_e32 v27, 16, v38
	v_sub_f32_e32 v35, v27, v26
	v_fmac_f32_e32 v26, s24, v35
	v_fma_f32 v27, -v25, v35, v27
	v_cndmask_b32_e64 v26, v27, v26, s[0:1]
	v_bfe_u32 v27, v26, 16, 1
	v_add3_u32 v27, v26, v27, s23
	v_lshrrev_b32_e32 v27, 16, v27
	v_cmp_o_f32_e32 vcc, v26, v26
	v_cndmask_b32_e32 v35, v34, v27, vcc
	v_mov_b32_e32 v27, s11
	v_add_co_u32_e32 v26, vcc, s10, v12
	v_addc_co_u32_e32 v27, vcc, v11, v27, vcc
	global_store_short v[26:27], v35, off
	s_branch .LBB17_8
.LBB17_25:
	s_endpgm
	.section	.rodata,"a",@progbits
	.p2align	6, 0x0
	.amdhsa_kernel _ZN2at6native12_GLOBAL__N_125multi_tensor_apply_kernelINS1_18TensorListMetadataILi3EEENS1_22TernaryOpScalarFunctorIN3c108BFloat16ELi3ELi2ELi2EEEJNS0_11LerpFunctorIfEEfEEEvT_T0_DpT1_
		.amdhsa_group_segment_fixed_size 0
		.amdhsa_private_segment_fixed_size 0
		.amdhsa_kernarg_size 3408
		.amdhsa_user_sgpr_count 6
		.amdhsa_user_sgpr_private_segment_buffer 1
		.amdhsa_user_sgpr_dispatch_ptr 0
		.amdhsa_user_sgpr_queue_ptr 0
		.amdhsa_user_sgpr_kernarg_segment_ptr 1
		.amdhsa_user_sgpr_dispatch_id 0
		.amdhsa_user_sgpr_flat_scratch_init 0
		.amdhsa_user_sgpr_kernarg_preload_length 0
		.amdhsa_user_sgpr_kernarg_preload_offset 0
		.amdhsa_user_sgpr_private_segment_size 0
		.amdhsa_uses_dynamic_stack 0
		.amdhsa_system_sgpr_private_segment_wavefront_offset 0
		.amdhsa_system_sgpr_workgroup_id_x 1
		.amdhsa_system_sgpr_workgroup_id_y 0
		.amdhsa_system_sgpr_workgroup_id_z 0
		.amdhsa_system_sgpr_workgroup_info 0
		.amdhsa_system_vgpr_workitem_id 0
		.amdhsa_next_free_vgpr 42
		.amdhsa_next_free_sgpr 28
		.amdhsa_accum_offset 44
		.amdhsa_reserve_vcc 1
		.amdhsa_reserve_flat_scratch 0
		.amdhsa_float_round_mode_32 0
		.amdhsa_float_round_mode_16_64 0
		.amdhsa_float_denorm_mode_32 3
		.amdhsa_float_denorm_mode_16_64 3
		.amdhsa_dx10_clamp 1
		.amdhsa_ieee_mode 1
		.amdhsa_fp16_overflow 0
		.amdhsa_tg_split 0
		.amdhsa_exception_fp_ieee_invalid_op 0
		.amdhsa_exception_fp_denorm_src 0
		.amdhsa_exception_fp_ieee_div_zero 0
		.amdhsa_exception_fp_ieee_overflow 0
		.amdhsa_exception_fp_ieee_underflow 0
		.amdhsa_exception_fp_ieee_inexact 0
		.amdhsa_exception_int_div_zero 0
	.end_amdhsa_kernel
	.section	.text._ZN2at6native12_GLOBAL__N_125multi_tensor_apply_kernelINS1_18TensorListMetadataILi3EEENS1_22TernaryOpScalarFunctorIN3c108BFloat16ELi3ELi2ELi2EEEJNS0_11LerpFunctorIfEEfEEEvT_T0_DpT1_,"axG",@progbits,_ZN2at6native12_GLOBAL__N_125multi_tensor_apply_kernelINS1_18TensorListMetadataILi3EEENS1_22TernaryOpScalarFunctorIN3c108BFloat16ELi3ELi2ELi2EEEJNS0_11LerpFunctorIfEEfEEEvT_T0_DpT1_,comdat
.Lfunc_end17:
	.size	_ZN2at6native12_GLOBAL__N_125multi_tensor_apply_kernelINS1_18TensorListMetadataILi3EEENS1_22TernaryOpScalarFunctorIN3c108BFloat16ELi3ELi2ELi2EEEJNS0_11LerpFunctorIfEEfEEEvT_T0_DpT1_, .Lfunc_end17-_ZN2at6native12_GLOBAL__N_125multi_tensor_apply_kernelINS1_18TensorListMetadataILi3EEENS1_22TernaryOpScalarFunctorIN3c108BFloat16ELi3ELi2ELi2EEEJNS0_11LerpFunctorIfEEfEEEvT_T0_DpT1_
                                        ; -- End function
	.section	.AMDGPU.csdata,"",@progbits
; Kernel info:
; codeLenInByte = 2172
; NumSgprs: 32
; NumVgprs: 42
; NumAgprs: 0
; TotalNumVgprs: 42
; ScratchSize: 0
; MemoryBound: 0
; FloatMode: 240
; IeeeMode: 1
; LDSByteSize: 0 bytes/workgroup (compile time only)
; SGPRBlocks: 3
; VGPRBlocks: 5
; NumSGPRsForWavesPerEU: 32
; NumVGPRsForWavesPerEU: 42
; AccumOffset: 44
; Occupancy: 8
; WaveLimiterHint : 0
; COMPUTE_PGM_RSRC2:SCRATCH_EN: 0
; COMPUTE_PGM_RSRC2:USER_SGPR: 6
; COMPUTE_PGM_RSRC2:TRAP_HANDLER: 0
; COMPUTE_PGM_RSRC2:TGID_X_EN: 1
; COMPUTE_PGM_RSRC2:TGID_Y_EN: 0
; COMPUTE_PGM_RSRC2:TGID_Z_EN: 0
; COMPUTE_PGM_RSRC2:TIDIG_COMP_CNT: 0
; COMPUTE_PGM_RSRC3_GFX90A:ACCUM_OFFSET: 10
; COMPUTE_PGM_RSRC3_GFX90A:TG_SPLIT: 0
	.section	.text._ZN2at6native12_GLOBAL__N_125multi_tensor_apply_kernelINS1_18TensorListMetadataILi2EEENS1_22TernaryOpScalarFunctorIdLi2ELi2ELi0EEEJNS0_11LerpFunctorIdEEdEEEvT_T0_DpT1_,"axG",@progbits,_ZN2at6native12_GLOBAL__N_125multi_tensor_apply_kernelINS1_18TensorListMetadataILi2EEENS1_22TernaryOpScalarFunctorIdLi2ELi2ELi0EEEJNS0_11LerpFunctorIdEEdEEEvT_T0_DpT1_,comdat
	.globl	_ZN2at6native12_GLOBAL__N_125multi_tensor_apply_kernelINS1_18TensorListMetadataILi2EEENS1_22TernaryOpScalarFunctorIdLi2ELi2ELi0EEEJNS0_11LerpFunctorIdEEdEEEvT_T0_DpT1_ ; -- Begin function _ZN2at6native12_GLOBAL__N_125multi_tensor_apply_kernelINS1_18TensorListMetadataILi2EEENS1_22TernaryOpScalarFunctorIdLi2ELi2ELi0EEEJNS0_11LerpFunctorIdEEdEEEvT_T0_DpT1_
	.p2align	8
	.type	_ZN2at6native12_GLOBAL__N_125multi_tensor_apply_kernelINS1_18TensorListMetadataILi2EEENS1_22TernaryOpScalarFunctorIdLi2ELi2ELi0EEEJNS0_11LerpFunctorIdEEdEEEvT_T0_DpT1_,@function
_ZN2at6native12_GLOBAL__N_125multi_tensor_apply_kernelINS1_18TensorListMetadataILi2EEENS1_22TernaryOpScalarFunctorIdLi2ELi2ELi0EEEJNS0_11LerpFunctorIdEEdEEEvT_T0_DpT1_: ; @_ZN2at6native12_GLOBAL__N_125multi_tensor_apply_kernelINS1_18TensorListMetadataILi2EEENS1_22TernaryOpScalarFunctorIdLi2ELi2ELi0EEEJNS0_11LerpFunctorIdEEdEEEvT_T0_DpT1_
; %bb.0:
	v_mov_b32_e32 v1, s6
	global_load_ubyte v1, v1, s[4:5] offset:1536
	s_add_u32 s0, s4, s6
	s_mul_hi_u32 s1, s6, 3
	s_mul_i32 s6, s6, 3
	s_addc_u32 s2, s5, 0
	s_add_u32 s0, s0, s6
	s_addc_u32 s1, s2, s1
	s_load_dword s2, s[0:1], 0x740
	s_mov_b32 s1, 0
	s_mov_b32 s15, s1
	;; [unrolled: 1-line block ×3, first 2 shown]
	s_waitcnt lgkmcnt(0)
	s_ashr_i32 s3, s2, 31
	s_lshl_b64 s[12:13], s[2:3], 19
	s_waitcnt vmcnt(0)
	v_readfirstlane_b32 s0, v1
	s_lshl_b32 s0, s0, 3
	s_load_dwordx2 s[18:19], s[4:5], s0 offset:0x0
	s_load_dwordx2 s[10:11], s[4:5], 0xc50
	s_load_dwordx2 s[16:17], s[4:5], s0 offset:0x400
	s_load_dwordx2 s[8:9], s[4:5], s0 offset:0x200
	s_waitcnt lgkmcnt(0)
	s_add_u32 s24, s18, s12
	s_addc_u32 s25, s19, s13
	s_and_b32 s0, s24, 31
	s_add_u32 s26, s8, s12
	s_addc_u32 s27, s9, s13
	s_and_b32 s14, s16, 3
	s_and_b32 s6, s26, 31
	s_or_b64 s[14:15], s[0:1], s[14:15]
	s_or_b64 s[6:7], s[6:7], s[14:15]
	s_lshl_b64 s[2:3], s[2:3], 16
	s_sub_u32 s14, s16, s2
	s_subb_u32 s15, s17, s3
	s_cmp_eq_u64 s[6:7], 0
	s_mov_b64 s[2:3], -1
	s_cbranch_scc0 .LBB18_5
; %bb.1:
	v_mov_b32_e32 v3, 0
	v_lshlrev_b32_e32 v2, 2, v0
	v_cmp_gt_i64_e32 vcc, s[14:15], v[2:3]
	s_and_saveexec_b64 s[16:17], vcc
	s_cbranch_execz .LBB18_4
; %bb.2:
	s_load_dword s0, s[4:5], 0xc64
	v_cmp_lt_f64_e64 vcc, |s[10:11]|, 0.5
	v_add_f64 v[4:5], -s[10:11], 1.0
	v_lshlrev_b32_e32 v6, 5, v0
	s_mov_b64 s[20:21], 0
	s_waitcnt lgkmcnt(0)
	s_and_b32 s0, s0, 0xffff
	v_add_lshl_u32 v2, v0, s0, 2
	s_lshl_b32 s28, s0, 2
	s_lshl_b32 s29, s0, 5
	s_mov_b64 s[22:23], 0xffff
	v_mov_b32_e32 v1, s1
.LBB18_3:                               ; =>This Inner Loop Header: Depth=1
	v_mov_b32_e32 v7, s25
	v_add_co_u32_e64 v26, s[2:3], s24, v6
	v_mov_b32_e32 v8, s27
	v_add_co_u32_e64 v24, s[0:1], s26, v6
	v_addc_co_u32_e64 v27, s[2:3], 0, v7, s[2:3]
	v_addc_co_u32_e64 v25, s[0:1], 0, v8, s[0:1]
	global_load_dwordx4 v[8:11], v[26:27], off
	global_load_dwordx4 v[12:15], v[24:25], off
	global_load_dwordx4 v[16:19], v[26:27], off offset:16
	global_load_dwordx4 v[20:23], v[24:25], off offset:16
	v_cmp_le_i64_e64 s[0:1], s[14:15], v[2:3]
	v_cmp_lt_u64_e64 s[2:3], s[22:23], v[2:3]
	s_or_b64 s[0:1], s[0:1], s[2:3]
	s_add_u32 s24, s24, s29
	s_addc_u32 s25, s25, 0
	s_add_u32 s26, s26, s29
	s_addc_u32 s27, s27, 0
	v_add_co_u32_e64 v2, s[6:7], s28, v2
	s_and_b64 s[0:1], exec, s[0:1]
	v_addc_co_u32_e64 v3, s[6:7], v3, v1, s[6:7]
	s_or_b64 s[20:21], s[0:1], s[20:21]
	s_waitcnt vmcnt(2)
	v_add_f64 v[24:25], v[12:13], -v[8:9]
	v_add_f64 v[28:29], v[14:15], -v[10:11]
	s_waitcnt vmcnt(0)
	v_add_f64 v[30:31], v[20:21], -v[16:17]
	v_add_f64 v[32:33], v[22:23], -v[18:19]
	v_fmac_f64_e32 v[8:9], s[10:11], v[24:25]
	v_fma_f64 v[12:13], -v[4:5], v[24:25], v[12:13]
	v_fmac_f64_e32 v[10:11], s[10:11], v[28:29]
	v_fma_f64 v[14:15], -v[4:5], v[28:29], v[14:15]
	;; [unrolled: 2-line block ×4, first 2 shown]
	v_cndmask_b32_e32 v9, v13, v9, vcc
	v_cndmask_b32_e32 v8, v12, v8, vcc
	;; [unrolled: 1-line block ×8, first 2 shown]
	global_store_dwordx4 v[26:27], v[8:11], off
	global_store_dwordx4 v[26:27], v[12:15], off offset:16
	s_andn2_b64 exec, exec, s[20:21]
	s_cbranch_execnz .LBB18_3
.LBB18_4:
	s_or_b64 exec, exec, s[16:17]
	s_mov_b64 s[2:3], 0
.LBB18_5:
	s_andn2_b64 vcc, exec, s[2:3]
	s_cbranch_vccnz .LBB18_25
; %bb.6:
	v_cmp_lt_i64_e64 s[0:1], s[14:15], 1
	s_and_b64 vcc, exec, s[0:1]
	s_cbranch_vccnz .LBB18_25
; %bb.7:
	s_load_dword s0, s[4:5], 0xc64
	v_mov_b32_e32 v2, 0x10000
	v_mov_b32_e32 v3, 0
	v_cmp_lt_u64_e32 vcc, s[14:15], v[2:3]
	v_lshlrev_b32_e32 v12, 3, v0
	s_waitcnt lgkmcnt(0)
	s_and_b32 s4, s0, 0xffff
	s_and_b64 s[0:1], vcc, exec
	v_mov_b32_e32 v15, s19
	v_add_co_u32_e32 v4, vcc, s18, v12
	v_addc_co_u32_e32 v1, vcc, 0, v15, vcc
	v_mov_b32_e32 v13, 0
	v_mov_b32_e32 v17, s9
	v_add_co_u32_e32 v6, vcc, s8, v12
	v_addc_co_u32_e32 v5, vcc, 0, v17, vcc
	v_mad_u64_u32 v[10:11], s[2:3], s4, 24, v[12:13]
	v_add_co_u32_e32 v8, vcc, s18, v10
	v_addc_co_u32_e32 v7, vcc, v15, v11, vcc
	v_add_co_u32_e32 v10, vcc, s8, v10
	s_mul_i32 s6, s4, 3
	v_addc_co_u32_e32 v9, vcc, v17, v11, vcc
	v_add_co_u32_e32 v19, vcc, s6, v0
	v_addc_co_u32_e64 v36, s[2:3], 0, 0, vcc
	s_cselect_b32 s17, s15, 0
	s_cselect_b32 s16, s14, 0x10000
	s_lshl_b32 s2, s4, 4
	v_add_co_u32_e32 v13, vcc, s2, v12
	v_addc_co_u32_e64 v16, s[2:3], 0, 0, vcc
	v_add_co_u32_e32 v12, vcc, s18, v13
	v_addc_co_u32_e32 v11, vcc, v15, v16, vcc
	v_add_co_u32_e32 v14, vcc, s8, v13
	s_lshl_b32 s5, s4, 1
	v_addc_co_u32_e32 v13, vcc, v17, v16, vcc
	v_add_co_u32_e32 v37, vcc, s5, v0
	v_addc_co_u32_e64 v38, s[2:3], 0, 0, vcc
	v_add_co_u32_e32 v39, vcc, s4, v0
	v_lshlrev_b32_e32 v18, 3, v39
	v_addc_co_u32_e64 v40, s[2:3], 0, 0, vcc
	v_add_co_u32_e32 v16, vcc, s18, v18
	v_addc_co_u32_e32 v15, vcc, 0, v15, vcc
	v_add_co_u32_e32 v18, vcc, s8, v18
	s_mov_b32 s22, 0
	v_cmp_lt_f64_e64 s[0:1], |s[10:11]|, 0.5
	v_add_f64 v[2:3], -s[10:11], 1.0
	s_lshl_b32 s23, s4, 2
	s_lshl_b32 s24, s4, 5
	v_addc_co_u32_e32 v17, vcc, 0, v17, vcc
	s_mov_b64 s[18:19], 0
	s_branch .LBB18_9
.LBB18_8:                               ;   in Loop: Header=BB18_9 Depth=1
	s_or_b64 exec, exec, s[2:3]
	s_add_u32 s18, s18, s23
	s_addc_u32 s19, s19, 0
	s_waitcnt vmcnt(1)
	v_pk_mov_b32 v[20:21], s[14:15], s[14:15] op_sel:[0,1]
	v_cmp_ge_i64_e32 vcc, s[18:19], v[20:21]
	v_mov_b32_e32 v20, 0xffff
	v_mov_b32_e32 v21, 0
	v_cmp_gt_u64_e64 s[2:3], s[18:19], v[20:21]
	s_or_b64 s[2:3], vcc, s[2:3]
	v_mov_b32_e32 v20, s22
	v_add_co_u32_e32 v4, vcc, s24, v4
	v_addc_co_u32_e32 v1, vcc, v1, v20, vcc
	v_add_co_u32_e32 v6, vcc, s24, v6
	v_addc_co_u32_e32 v5, vcc, v5, v20, vcc
	;; [unrolled: 2-line block ×8, first 2 shown]
	s_and_b64 vcc, exec, s[2:3]
	s_cbranch_vccnz .LBB18_25
.LBB18_9:                               ; =>This Inner Loop Header: Depth=1
	v_mov_b32_e32 v21, s19
	v_add_co_u32_e32 v20, vcc, s18, v0
	v_addc_co_u32_e32 v21, vcc, 0, v21, vcc
	v_cmp_gt_u64_e32 vcc, s[16:17], v[20:21]
	v_pk_mov_b32 v[20:21], 0, 0
	v_pk_mov_b32 v[22:23], v[20:21], v[20:21] op_sel:[0,1]
	s_waitcnt vmcnt(0)
	v_pk_mov_b32 v[24:25], v[20:21], v[20:21] op_sel:[0,1]
	s_and_saveexec_b64 s[4:5], vcc
	s_cbranch_execz .LBB18_11
; %bb.10:                               ;   in Loop: Header=BB18_9 Depth=1
	v_mov_b32_e32 v22, s13
	v_add_co_u32_e64 v26, s[2:3], s12, v6
	v_addc_co_u32_e64 v27, s[2:3], v5, v22, s[2:3]
	v_add_co_u32_e64 v28, s[2:3], s12, v4
	v_addc_co_u32_e64 v29, s[2:3], v1, v22, s[2:3]
	global_load_dwordx2 v[22:23], v[28:29], off
	global_load_dwordx2 v[24:25], v[26:27], off
.LBB18_11:                              ;   in Loop: Header=BB18_9 Depth=1
	s_or_b64 exec, exec, s[4:5]
	v_mov_b32_e32 v27, s19
	v_add_co_u32_e64 v26, s[2:3], s18, v39
	v_addc_co_u32_e64 v27, s[2:3], v40, v27, s[2:3]
	v_cmp_gt_u64_e64 s[2:3], s[16:17], v[26:27]
	v_pk_mov_b32 v[28:29], v[20:21], v[20:21] op_sel:[0,1]
	s_and_saveexec_b64 s[6:7], s[2:3]
	s_cbranch_execz .LBB18_13
; %bb.12:                               ;   in Loop: Header=BB18_9 Depth=1
	v_mov_b32_e32 v20, s13
	v_add_co_u32_e64 v26, s[4:5], s12, v18
	v_addc_co_u32_e64 v27, s[4:5], v17, v20, s[4:5]
	v_add_co_u32_e64 v30, s[4:5], s12, v16
	v_addc_co_u32_e64 v31, s[4:5], v15, v20, s[4:5]
	global_load_dwordx2 v[20:21], v[30:31], off
	global_load_dwordx2 v[28:29], v[26:27], off
.LBB18_13:                              ;   in Loop: Header=BB18_9 Depth=1
	s_or_b64 exec, exec, s[6:7]
	v_mov_b32_e32 v27, s19
	v_add_co_u32_e64 v26, s[4:5], s18, v37
	v_addc_co_u32_e64 v27, s[4:5], v38, v27, s[4:5]
	v_cmp_gt_u64_e64 s[4:5], s[16:17], v[26:27]
	v_pk_mov_b32 v[26:27], 0, 0
	v_pk_mov_b32 v[30:31], v[26:27], v[26:27] op_sel:[0,1]
	v_pk_mov_b32 v[32:33], v[26:27], v[26:27] op_sel:[0,1]
	s_and_saveexec_b64 s[8:9], s[4:5]
	s_cbranch_execz .LBB18_15
; %bb.14:                               ;   in Loop: Header=BB18_9 Depth=1
	v_mov_b32_e32 v30, s13
	v_add_co_u32_e64 v34, s[6:7], s12, v14
	v_addc_co_u32_e64 v35, s[6:7], v13, v30, s[6:7]
	v_add_co_u32_e64 v42, s[6:7], s12, v12
	v_addc_co_u32_e64 v43, s[6:7], v11, v30, s[6:7]
	global_load_dwordx2 v[30:31], v[42:43], off
	global_load_dwordx2 v[32:33], v[34:35], off
.LBB18_15:                              ;   in Loop: Header=BB18_9 Depth=1
	s_or_b64 exec, exec, s[8:9]
	v_mov_b32_e32 v35, s19
	v_add_co_u32_e64 v34, s[6:7], s18, v19
	v_addc_co_u32_e64 v35, s[6:7], v36, v35, s[6:7]
	v_cmp_gt_u64_e64 s[6:7], s[16:17], v[34:35]
	v_pk_mov_b32 v[34:35], v[26:27], v[26:27] op_sel:[0,1]
	s_and_saveexec_b64 s[20:21], s[6:7]
	s_cbranch_execnz .LBB18_20
; %bb.16:                               ;   in Loop: Header=BB18_9 Depth=1
	s_or_b64 exec, exec, s[20:21]
	s_and_saveexec_b64 s[8:9], vcc
	s_cbranch_execnz .LBB18_21
.LBB18_17:                              ;   in Loop: Header=BB18_9 Depth=1
	s_or_b64 exec, exec, s[8:9]
	s_and_saveexec_b64 s[8:9], s[2:3]
	s_cbranch_execnz .LBB18_22
.LBB18_18:                              ;   in Loop: Header=BB18_9 Depth=1
	s_or_b64 exec, exec, s[8:9]
	s_and_saveexec_b64 s[2:3], s[4:5]
	s_cbranch_execnz .LBB18_23
.LBB18_19:                              ;   in Loop: Header=BB18_9 Depth=1
	s_or_b64 exec, exec, s[2:3]
	s_and_saveexec_b64 s[2:3], s[6:7]
	s_cbranch_execz .LBB18_8
	s_branch .LBB18_24
.LBB18_20:                              ;   in Loop: Header=BB18_9 Depth=1
	v_mov_b32_e32 v26, s13
	v_add_co_u32_e64 v42, s[8:9], s12, v10
	v_addc_co_u32_e64 v43, s[8:9], v9, v26, s[8:9]
	v_add_co_u32_e64 v44, s[8:9], s12, v8
	v_addc_co_u32_e64 v45, s[8:9], v7, v26, s[8:9]
	global_load_dwordx2 v[26:27], v[44:45], off
	global_load_dwordx2 v[34:35], v[42:43], off
	s_or_b64 exec, exec, s[20:21]
	s_and_saveexec_b64 s[8:9], vcc
	s_cbranch_execz .LBB18_17
.LBB18_21:                              ;   in Loop: Header=BB18_9 Depth=1
	s_waitcnt vmcnt(0)
	v_add_f64 v[44:45], v[24:25], -v[22:23]
	v_mov_b32_e32 v41, s13
	v_add_co_u32_e32 v42, vcc, s12, v4
	v_fmac_f64_e32 v[22:23], s[10:11], v[44:45]
	v_fma_f64 v[24:25], -v[2:3], v[44:45], v[24:25]
	v_addc_co_u32_e32 v43, vcc, v1, v41, vcc
	v_cndmask_b32_e64 v23, v25, v23, s[0:1]
	v_cndmask_b32_e64 v22, v24, v22, s[0:1]
	global_store_dwordx2 v[42:43], v[22:23], off
	s_or_b64 exec, exec, s[8:9]
	s_and_saveexec_b64 s[8:9], s[2:3]
	s_cbranch_execz .LBB18_18
.LBB18_22:                              ;   in Loop: Header=BB18_9 Depth=1
	s_waitcnt vmcnt(0)
	v_add_f64 v[22:23], v[28:29], -v[20:21]
	v_fmac_f64_e32 v[20:21], s[10:11], v[22:23]
	v_fma_f64 v[22:23], -v[2:3], v[22:23], v[28:29]
	v_cndmask_b32_e64 v21, v23, v21, s[0:1]
	v_cndmask_b32_e64 v20, v22, v20, s[0:1]
	v_mov_b32_e32 v23, s13
	v_add_co_u32_e32 v22, vcc, s12, v16
	v_addc_co_u32_e32 v23, vcc, v15, v23, vcc
	global_store_dwordx2 v[22:23], v[20:21], off
	s_or_b64 exec, exec, s[8:9]
	s_and_saveexec_b64 s[2:3], s[4:5]
	s_cbranch_execz .LBB18_19
.LBB18_23:                              ;   in Loop: Header=BB18_9 Depth=1
	s_waitcnt vmcnt(0)
	v_add_f64 v[20:21], v[32:33], -v[30:31]
	v_fmac_f64_e32 v[30:31], s[10:11], v[20:21]
	v_fma_f64 v[20:21], -v[2:3], v[20:21], v[32:33]
	v_mov_b32_e32 v23, s13
	v_add_co_u32_e32 v22, vcc, s12, v12
	v_cndmask_b32_e64 v21, v21, v31, s[0:1]
	v_cndmask_b32_e64 v20, v20, v30, s[0:1]
	v_addc_co_u32_e32 v23, vcc, v11, v23, vcc
	global_store_dwordx2 v[22:23], v[20:21], off
	s_or_b64 exec, exec, s[2:3]
	s_and_saveexec_b64 s[2:3], s[6:7]
	s_cbranch_execz .LBB18_8
.LBB18_24:                              ;   in Loop: Header=BB18_9 Depth=1
	s_waitcnt vmcnt(0)
	v_add_f64 v[20:21], v[34:35], -v[26:27]
	v_fmac_f64_e32 v[26:27], s[10:11], v[20:21]
	v_fma_f64 v[20:21], -v[2:3], v[20:21], v[34:35]
	v_mov_b32_e32 v23, s13
	v_add_co_u32_e32 v22, vcc, s12, v8
	v_cndmask_b32_e64 v21, v21, v27, s[0:1]
	v_cndmask_b32_e64 v20, v20, v26, s[0:1]
	v_addc_co_u32_e32 v23, vcc, v7, v23, vcc
	global_store_dwordx2 v[22:23], v[20:21], off
	s_branch .LBB18_8
.LBB18_25:
	s_endpgm
	.section	.rodata,"a",@progbits
	.p2align	6, 0x0
	.amdhsa_kernel _ZN2at6native12_GLOBAL__N_125multi_tensor_apply_kernelINS1_18TensorListMetadataILi2EEENS1_22TernaryOpScalarFunctorIdLi2ELi2ELi0EEEJNS0_11LerpFunctorIdEEdEEEvT_T0_DpT1_
		.amdhsa_group_segment_fixed_size 0
		.amdhsa_private_segment_fixed_size 0
		.amdhsa_kernarg_size 3416
		.amdhsa_user_sgpr_count 6
		.amdhsa_user_sgpr_private_segment_buffer 1
		.amdhsa_user_sgpr_dispatch_ptr 0
		.amdhsa_user_sgpr_queue_ptr 0
		.amdhsa_user_sgpr_kernarg_segment_ptr 1
		.amdhsa_user_sgpr_dispatch_id 0
		.amdhsa_user_sgpr_flat_scratch_init 0
		.amdhsa_user_sgpr_kernarg_preload_length 0
		.amdhsa_user_sgpr_kernarg_preload_offset 0
		.amdhsa_user_sgpr_private_segment_size 0
		.amdhsa_uses_dynamic_stack 0
		.amdhsa_system_sgpr_private_segment_wavefront_offset 0
		.amdhsa_system_sgpr_workgroup_id_x 1
		.amdhsa_system_sgpr_workgroup_id_y 0
		.amdhsa_system_sgpr_workgroup_id_z 0
		.amdhsa_system_sgpr_workgroup_info 0
		.amdhsa_system_vgpr_workitem_id 0
		.amdhsa_next_free_vgpr 46
		.amdhsa_next_free_sgpr 30
		.amdhsa_accum_offset 48
		.amdhsa_reserve_vcc 1
		.amdhsa_reserve_flat_scratch 0
		.amdhsa_float_round_mode_32 0
		.amdhsa_float_round_mode_16_64 0
		.amdhsa_float_denorm_mode_32 3
		.amdhsa_float_denorm_mode_16_64 3
		.amdhsa_dx10_clamp 1
		.amdhsa_ieee_mode 1
		.amdhsa_fp16_overflow 0
		.amdhsa_tg_split 0
		.amdhsa_exception_fp_ieee_invalid_op 0
		.amdhsa_exception_fp_denorm_src 0
		.amdhsa_exception_fp_ieee_div_zero 0
		.amdhsa_exception_fp_ieee_overflow 0
		.amdhsa_exception_fp_ieee_underflow 0
		.amdhsa_exception_fp_ieee_inexact 0
		.amdhsa_exception_int_div_zero 0
	.end_amdhsa_kernel
	.section	.text._ZN2at6native12_GLOBAL__N_125multi_tensor_apply_kernelINS1_18TensorListMetadataILi2EEENS1_22TernaryOpScalarFunctorIdLi2ELi2ELi0EEEJNS0_11LerpFunctorIdEEdEEEvT_T0_DpT1_,"axG",@progbits,_ZN2at6native12_GLOBAL__N_125multi_tensor_apply_kernelINS1_18TensorListMetadataILi2EEENS1_22TernaryOpScalarFunctorIdLi2ELi2ELi0EEEJNS0_11LerpFunctorIdEEdEEEvT_T0_DpT1_,comdat
.Lfunc_end18:
	.size	_ZN2at6native12_GLOBAL__N_125multi_tensor_apply_kernelINS1_18TensorListMetadataILi2EEENS1_22TernaryOpScalarFunctorIdLi2ELi2ELi0EEEJNS0_11LerpFunctorIdEEdEEEvT_T0_DpT1_, .Lfunc_end18-_ZN2at6native12_GLOBAL__N_125multi_tensor_apply_kernelINS1_18TensorListMetadataILi2EEENS1_22TernaryOpScalarFunctorIdLi2ELi2ELi0EEEJNS0_11LerpFunctorIdEEdEEEvT_T0_DpT1_
                                        ; -- End function
	.section	.AMDGPU.csdata,"",@progbits
; Kernel info:
; codeLenInByte = 1712
; NumSgprs: 34
; NumVgprs: 46
; NumAgprs: 0
; TotalNumVgprs: 46
; ScratchSize: 0
; MemoryBound: 0
; FloatMode: 240
; IeeeMode: 1
; LDSByteSize: 0 bytes/workgroup (compile time only)
; SGPRBlocks: 4
; VGPRBlocks: 5
; NumSGPRsForWavesPerEU: 34
; NumVGPRsForWavesPerEU: 46
; AccumOffset: 48
; Occupancy: 8
; WaveLimiterHint : 0
; COMPUTE_PGM_RSRC2:SCRATCH_EN: 0
; COMPUTE_PGM_RSRC2:USER_SGPR: 6
; COMPUTE_PGM_RSRC2:TRAP_HANDLER: 0
; COMPUTE_PGM_RSRC2:TGID_X_EN: 1
; COMPUTE_PGM_RSRC2:TGID_Y_EN: 0
; COMPUTE_PGM_RSRC2:TGID_Z_EN: 0
; COMPUTE_PGM_RSRC2:TIDIG_COMP_CNT: 0
; COMPUTE_PGM_RSRC3_GFX90A:ACCUM_OFFSET: 11
; COMPUTE_PGM_RSRC3_GFX90A:TG_SPLIT: 0
	.section	.text._ZN2at6native12_GLOBAL__N_125multi_tensor_apply_kernelINS1_18TensorListMetadataILi2EEENS1_22TernaryOpScalarFunctorIfLi2ELi2ELi0EEEJNS0_11LerpFunctorIfEEfEEEvT_T0_DpT1_,"axG",@progbits,_ZN2at6native12_GLOBAL__N_125multi_tensor_apply_kernelINS1_18TensorListMetadataILi2EEENS1_22TernaryOpScalarFunctorIfLi2ELi2ELi0EEEJNS0_11LerpFunctorIfEEfEEEvT_T0_DpT1_,comdat
	.globl	_ZN2at6native12_GLOBAL__N_125multi_tensor_apply_kernelINS1_18TensorListMetadataILi2EEENS1_22TernaryOpScalarFunctorIfLi2ELi2ELi0EEEJNS0_11LerpFunctorIfEEfEEEvT_T0_DpT1_ ; -- Begin function _ZN2at6native12_GLOBAL__N_125multi_tensor_apply_kernelINS1_18TensorListMetadataILi2EEENS1_22TernaryOpScalarFunctorIfLi2ELi2ELi0EEEJNS0_11LerpFunctorIfEEfEEEvT_T0_DpT1_
	.p2align	8
	.type	_ZN2at6native12_GLOBAL__N_125multi_tensor_apply_kernelINS1_18TensorListMetadataILi2EEENS1_22TernaryOpScalarFunctorIfLi2ELi2ELi0EEEJNS0_11LerpFunctorIfEEfEEEvT_T0_DpT1_,@function
_ZN2at6native12_GLOBAL__N_125multi_tensor_apply_kernelINS1_18TensorListMetadataILi2EEENS1_22TernaryOpScalarFunctorIfLi2ELi2ELi0EEEJNS0_11LerpFunctorIfEEfEEEvT_T0_DpT1_: ; @_ZN2at6native12_GLOBAL__N_125multi_tensor_apply_kernelINS1_18TensorListMetadataILi2EEENS1_22TernaryOpScalarFunctorIfLi2ELi2ELi0EEEJNS0_11LerpFunctorIfEEfEEEvT_T0_DpT1_
; %bb.0:
	v_mov_b32_e32 v1, s6
	global_load_ubyte v1, v1, s[4:5] offset:1536
	s_add_u32 s0, s4, s6
	s_mul_hi_u32 s2, s6, 3
	s_mul_i32 s6, s6, 3
	s_addc_u32 s7, s5, 0
	s_add_u32 s6, s0, s6
	s_addc_u32 s7, s7, s2
	s_load_dword s6, s[6:7], 0x740
	s_mov_b32 s3, 0
	s_mov_b32 s17, s3
	;; [unrolled: 1-line block ×3, first 2 shown]
	s_waitcnt lgkmcnt(0)
	s_ashr_i32 s7, s6, 31
	s_lshl_b64 s[12:13], s[6:7], 18
	s_lshl_b64 s[6:7], s[6:7], 16
	s_waitcnt vmcnt(0)
	v_readfirstlane_b32 s0, v1
	s_lshl_b32 s0, s0, 3
	s_load_dwordx2 s[18:19], s[4:5], s0 offset:0x0
	s_load_dword s10, s[4:5], 0xc4c
	s_load_dwordx2 s[14:15], s[4:5], s0 offset:0x400
	s_load_dwordx2 s[8:9], s[4:5], s0 offset:0x200
	s_waitcnt lgkmcnt(0)
	s_and_b32 s2, s18, 15
	s_and_b32 s16, s14, 3
	;; [unrolled: 1-line block ×3, first 2 shown]
	s_or_b64 s[16:17], s[2:3], s[16:17]
	s_or_b64 s[0:1], s[0:1], s[16:17]
	s_sub_u32 s14, s14, s6
	s_subb_u32 s15, s15, s7
	s_cmp_eq_u64 s[0:1], 0
	s_mov_b64 s[0:1], -1
	s_cbranch_scc0 .LBB19_5
; %bb.1:
	v_mov_b32_e32 v3, 0
	v_lshlrev_b32_e32 v2, 2, v0
	v_cmp_gt_i64_e32 vcc, s[14:15], v[2:3]
	s_and_saveexec_b64 s[16:17], vcc
	s_cbranch_execz .LBB19_4
; %bb.2:
	s_load_dword s0, s[4:5], 0xc5c
	v_sub_f32_e64 v4, 1.0, s10
	v_lshlrev_b32_e32 v1, 4, v0
	v_mov_b32_e32 v2, s13
	v_xor_b32_e32 v8, 0x80000000, v4
	s_waitcnt lgkmcnt(0)
	s_and_b32 s2, s0, 0xffff
	v_add_co_u32_e64 v6, s[0:1], s12, v1
	v_cmp_lt_f32_e64 vcc, |s10|, 0.5
	s_mov_b32 s11, s10
	s_mov_b32 s20, s10
	;; [unrolled: 1-line block ×3, first 2 shown]
	v_mov_b32_e32 v5, v4
	v_addc_co_u32_e64 v1, s[0:1], 0, v2, s[0:1]
	s_lshl_b32 s26, s2, 4
	v_add_lshl_u32 v2, v0, s2, 2
	s_lshl_b32 s27, s2, 2
	s_mov_b64 s[22:23], 0
	v_mov_b32_e32 v7, s19
	v_mov_b32_e32 v10, s9
	;; [unrolled: 1-line block ×3, first 2 shown]
	s_mov_b64 s[24:25], 0xffff
	v_mov_b32_e32 v11, s3
	v_mov_b32_e32 v12, s3
.LBB19_3:                               ; =>This Inner Loop Header: Depth=1
	v_add_co_u32_e64 v22, s[0:1], s18, v6
	v_addc_co_u32_e64 v23, s[0:1], v7, v1, s[0:1]
	v_add_co_u32_e64 v24, s[0:1], s8, v6
	v_addc_co_u32_e64 v25, s[0:1], v10, v1, s[0:1]
	global_load_dwordx4 v[14:17], v[22:23], off
	global_load_dwordx4 v[18:21], v[24:25], off
	v_cmp_le_i64_e64 s[0:1], s[14:15], v[2:3]
	v_cmp_lt_u64_e64 s[2:3], s[24:25], v[2:3]
	v_add_co_u32_e64 v6, s[6:7], s26, v6
	v_addc_co_u32_e64 v1, s[6:7], v1, v11, s[6:7]
	s_or_b64 s[0:1], s[0:1], s[2:3]
	v_add_co_u32_e64 v2, s[6:7], s27, v2
	s_and_b64 s[0:1], exec, s[0:1]
	v_addc_co_u32_e64 v3, s[6:7], v3, v12, s[6:7]
	s_or_b64 s[22:23], s[0:1], s[22:23]
	s_waitcnt vmcnt(0)
	v_sub_f32_e32 v25, v21, v17
	v_sub_f32_e32 v24, v20, v16
	;; [unrolled: 1-line block ×4, first 2 shown]
	v_pk_fma_f32 v[14:15], v[26:27], s[10:11], v[14:15]
	v_pk_fma_f32 v[16:17], v[24:25], s[20:21], v[16:17]
	v_pk_fma_f32 v[18:19], v[4:5], v[26:27], v[18:19] neg_lo:[1,0,0] neg_hi:[1,0,0]
	v_pk_fma_f32 v[20:21], v[8:9], v[24:25], v[20:21]
	v_cndmask_b32_e32 v17, v21, v17, vcc
	v_cndmask_b32_e32 v16, v20, v16, vcc
	;; [unrolled: 1-line block ×4, first 2 shown]
	global_store_dwordx4 v[22:23], v[14:17], off
	s_andn2_b64 exec, exec, s[22:23]
	s_cbranch_execnz .LBB19_3
.LBB19_4:
	s_or_b64 exec, exec, s[16:17]
	s_mov_b64 s[0:1], 0
.LBB19_5:
	s_andn2_b64 vcc, exec, s[0:1]
	s_cbranch_vccnz .LBB19_25
; %bb.6:
	v_cmp_lt_i64_e64 s[0:1], s[14:15], 1
	s_and_b64 vcc, exec, s[0:1]
	s_cbranch_vccnz .LBB19_25
; %bb.7:
	s_load_dword s0, s[4:5], 0xc5c
	v_mov_b32_e32 v2, 0x10000
	v_mov_b32_e32 v3, 0
	v_cmp_lt_u64_e32 vcc, s[14:15], v[2:3]
	v_lshlrev_b32_e32 v10, 2, v0
	s_waitcnt lgkmcnt(0)
	s_and_b32 s4, s0, 0xffff
	s_and_b64 s[0:1], vcc, exec
	v_mov_b32_e32 v13, s19
	v_add_co_u32_e32 v2, vcc, s18, v10
	v_addc_co_u32_e32 v1, vcc, 0, v13, vcc
	v_mov_b32_e32 v11, 0
	v_mov_b32_e32 v15, s9
	v_add_co_u32_e32 v4, vcc, s8, v10
	v_addc_co_u32_e32 v3, vcc, 0, v15, vcc
	v_mad_u64_u32 v[8:9], s[2:3], s4, 12, v[10:11]
	v_add_co_u32_e32 v6, vcc, s18, v8
	v_addc_co_u32_e32 v5, vcc, v13, v9, vcc
	v_add_co_u32_e32 v8, vcc, s8, v8
	s_mul_i32 s6, s4, 3
	v_addc_co_u32_e32 v7, vcc, v15, v9, vcc
	v_add_co_u32_e32 v18, vcc, s6, v0
	v_addc_co_u32_e64 v19, s[2:3], 0, 0, vcc
	s_cselect_b32 s17, s15, 0
	s_cselect_b32 s16, s14, 0x10000
	s_lshl_b32 s2, s4, 3
	v_add_co_u32_e32 v11, vcc, s2, v10
	v_addc_co_u32_e64 v14, s[2:3], 0, 0, vcc
	v_add_co_u32_e32 v10, vcc, s18, v11
	v_addc_co_u32_e32 v9, vcc, v13, v14, vcc
	v_add_co_u32_e32 v12, vcc, s8, v11
	s_lshl_b32 s5, s4, 1
	v_addc_co_u32_e32 v11, vcc, v15, v14, vcc
	v_add_co_u32_e32 v20, vcc, s5, v0
	v_addc_co_u32_e64 v21, s[2:3], 0, 0, vcc
	v_add_co_u32_e32 v22, vcc, s4, v0
	v_lshlrev_b32_e32 v16, 2, v22
	v_addc_co_u32_e64 v23, s[2:3], 0, 0, vcc
	v_add_co_u32_e32 v14, vcc, s18, v16
	v_addc_co_u32_e32 v13, vcc, 0, v13, vcc
	v_add_co_u32_e32 v16, vcc, s8, v16
	s_mov_b32 s11, 0
	v_cmp_lt_f32_e64 s[0:1], |s10|, 0.5
	v_sub_f32_e64 v17, 1.0, s10
	s_lshl_b32 s22, s4, 2
	s_lshl_b32 s23, s4, 4
	v_addc_co_u32_e32 v15, vcc, 0, v15, vcc
	s_mov_b64 s[18:19], 0
	s_branch .LBB19_9
.LBB19_8:                               ;   in Loop: Header=BB19_9 Depth=1
	s_or_b64 exec, exec, s[2:3]
	s_add_u32 s18, s18, s22
	s_addc_u32 s19, s19, 0
	s_waitcnt vmcnt(1)
	v_pk_mov_b32 v[24:25], s[14:15], s[14:15] op_sel:[0,1]
	v_cmp_ge_i64_e32 vcc, s[18:19], v[24:25]
	v_mov_b32_e32 v24, 0xffff
	v_mov_b32_e32 v25, 0
	v_cmp_gt_u64_e64 s[2:3], s[18:19], v[24:25]
	s_or_b64 s[2:3], vcc, s[2:3]
	v_mov_b32_e32 v24, s11
	v_add_co_u32_e32 v2, vcc, s23, v2
	v_addc_co_u32_e32 v1, vcc, v1, v24, vcc
	v_add_co_u32_e32 v4, vcc, s23, v4
	v_addc_co_u32_e32 v3, vcc, v3, v24, vcc
	;; [unrolled: 2-line block ×8, first 2 shown]
	s_and_b64 vcc, exec, s[2:3]
	s_cbranch_vccnz .LBB19_25
.LBB19_9:                               ; =>This Inner Loop Header: Depth=1
	v_mov_b32_e32 v25, s19
	v_add_co_u32_e32 v24, vcc, s18, v0
	v_addc_co_u32_e32 v25, vcc, 0, v25, vcc
	v_cmp_gt_u64_e32 vcc, s[16:17], v[24:25]
	v_mov_b32_e32 v24, 0
	s_waitcnt vmcnt(0)
	v_mov_b32_e32 v26, 0
	s_and_saveexec_b64 s[4:5], vcc
	s_cbranch_execz .LBB19_11
; %bb.10:                               ;   in Loop: Header=BB19_9 Depth=1
	v_mov_b32_e32 v24, s13
	v_add_co_u32_e64 v28, s[2:3], s12, v4
	v_addc_co_u32_e64 v29, s[2:3], v3, v24, s[2:3]
	v_add_co_u32_e64 v30, s[2:3], s12, v2
	v_addc_co_u32_e64 v31, s[2:3], v1, v24, s[2:3]
	global_load_dword v24, v[30:31], off
	global_load_dword v26, v[28:29], off
.LBB19_11:                              ;   in Loop: Header=BB19_9 Depth=1
	s_or_b64 exec, exec, s[4:5]
	v_mov_b32_e32 v25, s19
	v_add_co_u32_e64 v28, s[2:3], s18, v22
	v_addc_co_u32_e64 v29, s[2:3], v23, v25, s[2:3]
	v_cmp_gt_u64_e64 s[2:3], s[16:17], v[28:29]
	v_mov_b32_e32 v25, 0
	v_mov_b32_e32 v27, 0
	;; [unrolled: 1-line block ×3, first 2 shown]
	s_and_saveexec_b64 s[6:7], s[2:3]
	s_cbranch_execz .LBB19_13
; %bb.12:                               ;   in Loop: Header=BB19_9 Depth=1
	v_mov_b32_e32 v27, s13
	v_add_co_u32_e64 v30, s[4:5], s12, v16
	v_addc_co_u32_e64 v31, s[4:5], v15, v27, s[4:5]
	v_add_co_u32_e64 v32, s[4:5], s12, v14
	v_addc_co_u32_e64 v33, s[4:5], v13, v27, s[4:5]
	global_load_dword v27, v[32:33], off
	global_load_dword v28, v[30:31], off
.LBB19_13:                              ;   in Loop: Header=BB19_9 Depth=1
	s_or_b64 exec, exec, s[6:7]
	v_mov_b32_e32 v29, s19
	v_add_co_u32_e64 v30, s[4:5], s18, v20
	v_addc_co_u32_e64 v31, s[4:5], v21, v29, s[4:5]
	v_cmp_gt_u64_e64 s[4:5], s[16:17], v[30:31]
	v_mov_b32_e32 v29, 0
	s_and_saveexec_b64 s[8:9], s[4:5]
	s_cbranch_execz .LBB19_15
; %bb.14:                               ;   in Loop: Header=BB19_9 Depth=1
	v_mov_b32_e32 v25, s13
	v_add_co_u32_e64 v30, s[6:7], s12, v12
	v_addc_co_u32_e64 v31, s[6:7], v11, v25, s[6:7]
	v_add_co_u32_e64 v32, s[6:7], s12, v10
	v_addc_co_u32_e64 v33, s[6:7], v9, v25, s[6:7]
	global_load_dword v25, v[32:33], off
	global_load_dword v29, v[30:31], off
.LBB19_15:                              ;   in Loop: Header=BB19_9 Depth=1
	s_or_b64 exec, exec, s[8:9]
	v_mov_b32_e32 v31, s19
	v_add_co_u32_e64 v30, s[6:7], s18, v18
	v_addc_co_u32_e64 v31, s[6:7], v19, v31, s[6:7]
	v_cmp_gt_u64_e64 s[6:7], s[16:17], v[30:31]
	v_mov_b32_e32 v30, 0
	v_mov_b32_e32 v31, 0
	s_and_saveexec_b64 s[20:21], s[6:7]
	s_cbranch_execnz .LBB19_20
; %bb.16:                               ;   in Loop: Header=BB19_9 Depth=1
	s_or_b64 exec, exec, s[20:21]
	s_and_saveexec_b64 s[8:9], vcc
	s_cbranch_execnz .LBB19_21
.LBB19_17:                              ;   in Loop: Header=BB19_9 Depth=1
	s_or_b64 exec, exec, s[8:9]
	s_and_saveexec_b64 s[8:9], s[2:3]
	s_cbranch_execnz .LBB19_22
.LBB19_18:                              ;   in Loop: Header=BB19_9 Depth=1
	s_or_b64 exec, exec, s[8:9]
	s_and_saveexec_b64 s[2:3], s[4:5]
	s_cbranch_execnz .LBB19_23
.LBB19_19:                              ;   in Loop: Header=BB19_9 Depth=1
	s_or_b64 exec, exec, s[2:3]
	s_and_saveexec_b64 s[2:3], s[6:7]
	s_cbranch_execz .LBB19_8
	s_branch .LBB19_24
.LBB19_20:                              ;   in Loop: Header=BB19_9 Depth=1
	v_mov_b32_e32 v30, s13
	v_add_co_u32_e64 v32, s[8:9], s12, v8
	v_addc_co_u32_e64 v33, s[8:9], v7, v30, s[8:9]
	v_add_co_u32_e64 v34, s[8:9], s12, v6
	v_addc_co_u32_e64 v35, s[8:9], v5, v30, s[8:9]
	global_load_dword v30, v[34:35], off
	global_load_dword v31, v[32:33], off
	s_or_b64 exec, exec, s[20:21]
	s_and_saveexec_b64 s[8:9], vcc
	s_cbranch_execz .LBB19_17
.LBB19_21:                              ;   in Loop: Header=BB19_9 Depth=1
	s_waitcnt vmcnt(0)
	v_sub_f32_e32 v34, v26, v24
	v_mov_b32_e32 v33, s13
	v_add_co_u32_e32 v32, vcc, s12, v2
	v_fmac_f32_e32 v24, s10, v34
	v_fma_f32 v26, -v17, v34, v26
	v_addc_co_u32_e32 v33, vcc, v1, v33, vcc
	v_cndmask_b32_e64 v24, v26, v24, s[0:1]
	global_store_dword v[32:33], v24, off
	s_or_b64 exec, exec, s[8:9]
	s_and_saveexec_b64 s[8:9], s[2:3]
	s_cbranch_execz .LBB19_18
.LBB19_22:                              ;   in Loop: Header=BB19_9 Depth=1
	s_waitcnt vmcnt(0)
	v_sub_f32_e32 v24, v28, v27
	v_fmac_f32_e32 v27, s10, v24
	v_fma_f32 v24, -v17, v24, v28
	v_cndmask_b32_e64 v24, v24, v27, s[0:1]
	v_mov_b32_e32 v27, s13
	v_add_co_u32_e32 v26, vcc, s12, v14
	v_addc_co_u32_e32 v27, vcc, v13, v27, vcc
	global_store_dword v[26:27], v24, off
	s_or_b64 exec, exec, s[8:9]
	s_and_saveexec_b64 s[2:3], s[4:5]
	s_cbranch_execz .LBB19_19
.LBB19_23:                              ;   in Loop: Header=BB19_9 Depth=1
	s_waitcnt vmcnt(0)
	v_sub_f32_e32 v24, v29, v25
	v_fmac_f32_e32 v25, s10, v24
	v_fma_f32 v24, -v17, v24, v29
	v_cndmask_b32_e64 v26, v24, v25, s[0:1]
	v_mov_b32_e32 v25, s13
	v_add_co_u32_e32 v24, vcc, s12, v10
	v_addc_co_u32_e32 v25, vcc, v9, v25, vcc
	global_store_dword v[24:25], v26, off
	s_or_b64 exec, exec, s[2:3]
	s_and_saveexec_b64 s[2:3], s[6:7]
	s_cbranch_execz .LBB19_8
.LBB19_24:                              ;   in Loop: Header=BB19_9 Depth=1
	s_waitcnt vmcnt(0)
	v_sub_f32_e32 v24, v31, v30
	v_fmac_f32_e32 v30, s10, v24
	v_fma_f32 v24, -v17, v24, v31
	v_cndmask_b32_e64 v26, v24, v30, s[0:1]
	v_mov_b32_e32 v25, s13
	v_add_co_u32_e32 v24, vcc, s12, v6
	v_addc_co_u32_e32 v25, vcc, v5, v25, vcc
	global_store_dword v[24:25], v26, off
	s_branch .LBB19_8
.LBB19_25:
	s_endpgm
	.section	.rodata,"a",@progbits
	.p2align	6, 0x0
	.amdhsa_kernel _ZN2at6native12_GLOBAL__N_125multi_tensor_apply_kernelINS1_18TensorListMetadataILi2EEENS1_22TernaryOpScalarFunctorIfLi2ELi2ELi0EEEJNS0_11LerpFunctorIfEEfEEEvT_T0_DpT1_
		.amdhsa_group_segment_fixed_size 0
		.amdhsa_private_segment_fixed_size 0
		.amdhsa_kernarg_size 3408
		.amdhsa_user_sgpr_count 6
		.amdhsa_user_sgpr_private_segment_buffer 1
		.amdhsa_user_sgpr_dispatch_ptr 0
		.amdhsa_user_sgpr_queue_ptr 0
		.amdhsa_user_sgpr_kernarg_segment_ptr 1
		.amdhsa_user_sgpr_dispatch_id 0
		.amdhsa_user_sgpr_flat_scratch_init 0
		.amdhsa_user_sgpr_kernarg_preload_length 0
		.amdhsa_user_sgpr_kernarg_preload_offset 0
		.amdhsa_user_sgpr_private_segment_size 0
		.amdhsa_uses_dynamic_stack 0
		.amdhsa_system_sgpr_private_segment_wavefront_offset 0
		.amdhsa_system_sgpr_workgroup_id_x 1
		.amdhsa_system_sgpr_workgroup_id_y 0
		.amdhsa_system_sgpr_workgroup_id_z 0
		.amdhsa_system_sgpr_workgroup_info 0
		.amdhsa_system_vgpr_workitem_id 0
		.amdhsa_next_free_vgpr 36
		.amdhsa_next_free_sgpr 28
		.amdhsa_accum_offset 36
		.amdhsa_reserve_vcc 1
		.amdhsa_reserve_flat_scratch 0
		.amdhsa_float_round_mode_32 0
		.amdhsa_float_round_mode_16_64 0
		.amdhsa_float_denorm_mode_32 3
		.amdhsa_float_denorm_mode_16_64 3
		.amdhsa_dx10_clamp 1
		.amdhsa_ieee_mode 1
		.amdhsa_fp16_overflow 0
		.amdhsa_tg_split 0
		.amdhsa_exception_fp_ieee_invalid_op 0
		.amdhsa_exception_fp_denorm_src 0
		.amdhsa_exception_fp_ieee_div_zero 0
		.amdhsa_exception_fp_ieee_overflow 0
		.amdhsa_exception_fp_ieee_underflow 0
		.amdhsa_exception_fp_ieee_inexact 0
		.amdhsa_exception_int_div_zero 0
	.end_amdhsa_kernel
	.section	.text._ZN2at6native12_GLOBAL__N_125multi_tensor_apply_kernelINS1_18TensorListMetadataILi2EEENS1_22TernaryOpScalarFunctorIfLi2ELi2ELi0EEEJNS0_11LerpFunctorIfEEfEEEvT_T0_DpT1_,"axG",@progbits,_ZN2at6native12_GLOBAL__N_125multi_tensor_apply_kernelINS1_18TensorListMetadataILi2EEENS1_22TernaryOpScalarFunctorIfLi2ELi2ELi0EEEJNS0_11LerpFunctorIfEEfEEEvT_T0_DpT1_,comdat
.Lfunc_end19:
	.size	_ZN2at6native12_GLOBAL__N_125multi_tensor_apply_kernelINS1_18TensorListMetadataILi2EEENS1_22TernaryOpScalarFunctorIfLi2ELi2ELi0EEEJNS0_11LerpFunctorIfEEfEEEvT_T0_DpT1_, .Lfunc_end19-_ZN2at6native12_GLOBAL__N_125multi_tensor_apply_kernelINS1_18TensorListMetadataILi2EEENS1_22TernaryOpScalarFunctorIfLi2ELi2ELi0EEEJNS0_11LerpFunctorIfEEfEEEvT_T0_DpT1_
                                        ; -- End function
	.section	.AMDGPU.csdata,"",@progbits
; Kernel info:
; codeLenInByte = 1592
; NumSgprs: 32
; NumVgprs: 36
; NumAgprs: 0
; TotalNumVgprs: 36
; ScratchSize: 0
; MemoryBound: 0
; FloatMode: 240
; IeeeMode: 1
; LDSByteSize: 0 bytes/workgroup (compile time only)
; SGPRBlocks: 3
; VGPRBlocks: 4
; NumSGPRsForWavesPerEU: 32
; NumVGPRsForWavesPerEU: 36
; AccumOffset: 36
; Occupancy: 8
; WaveLimiterHint : 0
; COMPUTE_PGM_RSRC2:SCRATCH_EN: 0
; COMPUTE_PGM_RSRC2:USER_SGPR: 6
; COMPUTE_PGM_RSRC2:TRAP_HANDLER: 0
; COMPUTE_PGM_RSRC2:TGID_X_EN: 1
; COMPUTE_PGM_RSRC2:TGID_Y_EN: 0
; COMPUTE_PGM_RSRC2:TGID_Z_EN: 0
; COMPUTE_PGM_RSRC2:TIDIG_COMP_CNT: 0
; COMPUTE_PGM_RSRC3_GFX90A:ACCUM_OFFSET: 8
; COMPUTE_PGM_RSRC3_GFX90A:TG_SPLIT: 0
	.section	.text._ZN2at6native12_GLOBAL__N_125multi_tensor_apply_kernelINS1_18TensorListMetadataILi2EEENS1_22TernaryOpScalarFunctorIN3c107complexIdEELi2ELi2ELi0EEEJNS0_11LerpFunctorIS8_EES8_EEEvT_T0_DpT1_,"axG",@progbits,_ZN2at6native12_GLOBAL__N_125multi_tensor_apply_kernelINS1_18TensorListMetadataILi2EEENS1_22TernaryOpScalarFunctorIN3c107complexIdEELi2ELi2ELi0EEEJNS0_11LerpFunctorIS8_EES8_EEEvT_T0_DpT1_,comdat
	.globl	_ZN2at6native12_GLOBAL__N_125multi_tensor_apply_kernelINS1_18TensorListMetadataILi2EEENS1_22TernaryOpScalarFunctorIN3c107complexIdEELi2ELi2ELi0EEEJNS0_11LerpFunctorIS8_EES8_EEEvT_T0_DpT1_ ; -- Begin function _ZN2at6native12_GLOBAL__N_125multi_tensor_apply_kernelINS1_18TensorListMetadataILi2EEENS1_22TernaryOpScalarFunctorIN3c107complexIdEELi2ELi2ELi0EEEJNS0_11LerpFunctorIS8_EES8_EEEvT_T0_DpT1_
	.p2align	8
	.type	_ZN2at6native12_GLOBAL__N_125multi_tensor_apply_kernelINS1_18TensorListMetadataILi2EEENS1_22TernaryOpScalarFunctorIN3c107complexIdEELi2ELi2ELi0EEEJNS0_11LerpFunctorIS8_EES8_EEEvT_T0_DpT1_,@function
_ZN2at6native12_GLOBAL__N_125multi_tensor_apply_kernelINS1_18TensorListMetadataILi2EEENS1_22TernaryOpScalarFunctorIN3c107complexIdEELi2ELi2ELi0EEEJNS0_11LerpFunctorIS8_EES8_EEEvT_T0_DpT1_: ; @_ZN2at6native12_GLOBAL__N_125multi_tensor_apply_kernelINS1_18TensorListMetadataILi2EEENS1_22TernaryOpScalarFunctorIN3c107complexIdEELi2ELi2ELi0EEEJNS0_11LerpFunctorIS8_EES8_EEEvT_T0_DpT1_
; %bb.0:
	v_mov_b32_e32 v1, s6
	global_load_ubyte v1, v1, s[4:5] offset:1536
	s_add_u32 s0, s4, s6
	s_mul_hi_u32 s3, s6, 3
	s_mul_i32 s6, s6, 3
	s_addc_u32 s7, s5, 0
	s_add_u32 s2, s0, s6
	s_addc_u32 s3, s7, s3
	s_load_dword s2, s[2:3], 0x740
	s_mov_b32 s11, 0
	s_load_dwordx4 s[12:15], s[4:5], 0xc50
	s_mov_b32 s1, s11
	s_mov_b32 s21, s11
	s_waitcnt lgkmcnt(0)
	s_ashr_i32 s3, s2, 31
	s_lshl_b64 s[16:17], s[2:3], 20
	s_waitcnt vmcnt(0)
	v_readfirstlane_b32 s0, v1
	s_lshl_b32 s0, s0, 3
	s_load_dwordx2 s[6:7], s[4:5], s0 offset:0x0
	s_load_dwordx2 s[18:19], s[4:5], s0 offset:0x400
	;; [unrolled: 1-line block ×3, first 2 shown]
	s_waitcnt lgkmcnt(0)
	s_add_u32 s28, s6, s16
	s_addc_u32 s29, s7, s17
	s_add_u32 s30, s8, s16
	s_addc_u32 s31, s9, s17
	s_and_b32 s0, s28, 63
	s_and_b32 s20, s18, 3
	;; [unrolled: 1-line block ×3, first 2 shown]
	s_or_b64 s[0:1], s[0:1], s[20:21]
	s_lshl_b64 s[2:3], s[2:3], 16
	s_or_b64 s[0:1], s[10:11], s[0:1]
	s_sub_u32 s18, s18, s2
	s_subb_u32 s19, s19, s3
	s_cmp_eq_u64 s[0:1], 0
	s_mov_b64 s[0:1], -1
	s_cbranch_scc0 .LBB20_21
; %bb.1:
	v_mov_b32_e32 v35, 0
	v_lshlrev_b32_e32 v34, 2, v0
	v_cmp_gt_i64_e32 vcc, s[18:19], v[34:35]
	s_and_saveexec_b64 s[20:21], vcc
	s_cbranch_execz .LBB20_20
; %bb.2:
	s_load_dword s2, s[4:5], 0xc6c
	v_mul_f64 v[2:3], s[14:15], s[14:15]
	s_mov_b32 s0, 0
	v_fmac_f64_e64 v[2:3], s[12:13], s[12:13]
	s_mov_b32 s1, 0x3fd00000
	s_waitcnt lgkmcnt(0)
	s_and_b32 s2, s2, 0xffff
	v_cmp_ngt_f64_e64 s[0:1], s[0:1], v[2:3]
	v_add_f64 v[36:37], -s[12:13], 1.0
	s_mov_b64 s[22:23], 0
	v_add_f64 v[38:39], -s[14:15], 0
	v_add_lshl_u32 v34, v0, s2, 2
	s_lshl_b32 s10, s2, 2
	v_lshlrev_b32_e32 v40, 6, v0
	s_lshl_b32 s33, s2, 6
	s_mov_b64 s[24:25], 0xffff
	s_branch .LBB20_4
.LBB20_3:                               ;   in Loop: Header=BB20_4 Depth=1
	v_cmp_le_i64_e32 vcc, s[18:19], v[34:35]
	v_cmp_lt_u64_e64 s[2:3], s[24:25], v[34:35]
	s_or_b64 s[2:3], vcc, s[2:3]
	s_add_u32 s28, s28, s33
	s_addc_u32 s29, s29, 0
	s_add_u32 s30, s30, s33
	s_addc_u32 s31, s31, 0
	v_mov_b32_e32 v1, s11
	s_and_b64 s[2:3], exec, s[2:3]
	v_add_co_u32_e32 v34, vcc, s10, v34
	s_or_b64 s[22:23], s[2:3], s[22:23]
	v_addc_co_u32_e32 v35, vcc, v35, v1, vcc
	global_store_dwordx4 v[42:43], v[6:9], off
	global_store_dwordx4 v[42:43], v[18:21], off offset:16
	global_store_dwordx4 v[42:43], v[22:25], off offset:32
	;; [unrolled: 1-line block ×3, first 2 shown]
	s_andn2_b64 exec, exec, s[22:23]
	s_cbranch_execz .LBB20_20
.LBB20_4:                               ; =>This Inner Loop Header: Depth=1
	v_mov_b32_e32 v1, s29
	v_add_co_u32_e32 v42, vcc, s28, v40
	v_addc_co_u32_e32 v43, vcc, 0, v1, vcc
	global_load_dwordx4 v[26:29], v[42:43], off offset:16
	global_load_dwordx4 v[30:33], v[42:43], off
	v_mov_b32_e32 v1, s31
	v_add_co_u32_e32 v44, vcc, s30, v40
	v_addc_co_u32_e32 v45, vcc, 0, v1, vcc
	global_load_dwordx4 v[18:21], v[44:45], off offset:16
	global_load_dwordx4 v[6:9], v[44:45], off
	global_load_dwordx4 v[2:5], v[42:43], off offset:48
	global_load_dwordx4 v[14:17], v[42:43], off offset:32
	;; [unrolled: 1-line block ×4, first 2 shown]
	s_and_b64 vcc, exec, s[0:1]
	s_waitcnt vmcnt(4)
	v_add_f64 v[44:45], v[6:7], -v[30:31]
	v_add_f64 v[46:47], v[8:9], -v[32:33]
	s_cbranch_vccz .LBB20_6
; %bb.5:                                ;   in Loop: Header=BB20_4 Depth=1
	v_mul_f64 v[48:49], v[38:39], v[46:47]
	v_mul_f64 v[50:51], v[36:37], v[46:47]
	v_fma_f64 v[48:49], v[36:37], v[44:45], -v[48:49]
	v_fmac_f64_e32 v[50:51], v[38:39], v[44:45]
	v_add_f64 v[6:7], v[6:7], -v[48:49]
	v_add_f64 v[8:9], v[8:9], -v[50:51]
	s_cbranch_execz .LBB20_7
	s_branch .LBB20_8
.LBB20_6:                               ;   in Loop: Header=BB20_4 Depth=1
                                        ; implicit-def: $vgpr8_vgpr9
.LBB20_7:                               ;   in Loop: Header=BB20_4 Depth=1
	v_mul_f64 v[6:7], s[14:15], v[46:47]
	v_mul_f64 v[8:9], s[12:13], v[46:47]
	v_fma_f64 v[6:7], s[12:13], v[44:45], -v[6:7]
	v_fmac_f64_e32 v[8:9], s[14:15], v[44:45]
	v_add_f64 v[6:7], v[30:31], v[6:7]
	v_add_f64 v[8:9], v[32:33], v[8:9]
.LBB20_8:                               ;   in Loop: Header=BB20_4 Depth=1
	v_cndmask_b32_e64 v1, 0, 1, s[0:1]
	v_add_f64 v[30:31], v[18:19], -v[26:27]
	v_cmp_ne_u32_e64 s[2:3], 1, v1
	s_andn2_b64 vcc, exec, s[0:1]
	v_add_f64 v[32:33], v[20:21], -v[28:29]
	s_cbranch_vccnz .LBB20_10
; %bb.9:                                ;   in Loop: Header=BB20_4 Depth=1
	v_mul_f64 v[44:45], v[38:39], v[32:33]
	v_mul_f64 v[46:47], v[36:37], v[32:33]
	v_fma_f64 v[44:45], v[36:37], v[30:31], -v[44:45]
	v_fmac_f64_e32 v[46:47], v[38:39], v[30:31]
	v_add_f64 v[18:19], v[18:19], -v[44:45]
	v_add_f64 v[20:21], v[20:21], -v[46:47]
	s_cbranch_execz .LBB20_11
	s_branch .LBB20_12
.LBB20_10:                              ;   in Loop: Header=BB20_4 Depth=1
                                        ; implicit-def: $vgpr20_vgpr21
.LBB20_11:                              ;   in Loop: Header=BB20_4 Depth=1
	v_mul_f64 v[18:19], s[14:15], v[32:33]
	v_mul_f64 v[20:21], s[12:13], v[32:33]
	v_fma_f64 v[18:19], s[12:13], v[30:31], -v[18:19]
	v_fmac_f64_e32 v[20:21], s[14:15], v[30:31]
	v_add_f64 v[18:19], v[26:27], v[18:19]
	v_add_f64 v[20:21], v[28:29], v[20:21]
.LBB20_12:                              ;   in Loop: Header=BB20_4 Depth=1
	s_waitcnt vmcnt(0)
	v_add_f64 v[26:27], v[22:23], -v[14:15]
	s_and_b64 vcc, exec, s[2:3]
	v_add_f64 v[28:29], v[24:25], -v[16:17]
	s_cbranch_vccnz .LBB20_14
; %bb.13:                               ;   in Loop: Header=BB20_4 Depth=1
	v_mul_f64 v[30:31], v[38:39], v[28:29]
	v_mul_f64 v[32:33], v[36:37], v[28:29]
	v_fma_f64 v[30:31], v[36:37], v[26:27], -v[30:31]
	v_fmac_f64_e32 v[32:33], v[38:39], v[26:27]
	v_add_f64 v[22:23], v[22:23], -v[30:31]
	v_add_f64 v[24:25], v[24:25], -v[32:33]
	s_cbranch_execz .LBB20_15
	s_branch .LBB20_16
.LBB20_14:                              ;   in Loop: Header=BB20_4 Depth=1
                                        ; implicit-def: $vgpr24_vgpr25
.LBB20_15:                              ;   in Loop: Header=BB20_4 Depth=1
	v_mul_f64 v[22:23], s[14:15], v[28:29]
	v_mul_f64 v[24:25], s[12:13], v[28:29]
	v_fma_f64 v[22:23], s[12:13], v[26:27], -v[22:23]
	v_fmac_f64_e32 v[24:25], s[14:15], v[26:27]
	v_add_f64 v[22:23], v[14:15], v[22:23]
	v_add_f64 v[24:25], v[16:17], v[24:25]
.LBB20_16:                              ;   in Loop: Header=BB20_4 Depth=1
	v_add_f64 v[14:15], v[10:11], -v[2:3]
	s_and_b64 vcc, exec, s[2:3]
	v_add_f64 v[16:17], v[12:13], -v[4:5]
	s_cbranch_vccnz .LBB20_18
; %bb.17:                               ;   in Loop: Header=BB20_4 Depth=1
	v_mul_f64 v[26:27], v[38:39], v[16:17]
	v_mul_f64 v[28:29], v[36:37], v[16:17]
	v_fma_f64 v[26:27], v[36:37], v[14:15], -v[26:27]
	v_fmac_f64_e32 v[28:29], v[38:39], v[14:15]
	v_add_f64 v[10:11], v[10:11], -v[26:27]
	v_add_f64 v[12:13], v[12:13], -v[28:29]
	s_cbranch_execnz .LBB20_3
	s_branch .LBB20_19
.LBB20_18:                              ;   in Loop: Header=BB20_4 Depth=1
                                        ; implicit-def: $vgpr12_vgpr13
.LBB20_19:                              ;   in Loop: Header=BB20_4 Depth=1
	v_mul_f64 v[10:11], s[14:15], v[16:17]
	v_mul_f64 v[12:13], s[12:13], v[16:17]
	v_fma_f64 v[10:11], s[12:13], v[14:15], -v[10:11]
	v_fmac_f64_e32 v[12:13], s[14:15], v[14:15]
	v_add_f64 v[10:11], v[2:3], v[10:11]
	v_add_f64 v[12:13], v[4:5], v[12:13]
	s_branch .LBB20_3
.LBB20_20:
	s_or_b64 exec, exec, s[20:21]
	s_mov_b64 s[0:1], 0
.LBB20_21:
	s_andn2_b64 vcc, exec, s[0:1]
	s_cbranch_vccnz .LBB20_57
; %bb.22:
	v_cmp_lt_i64_e64 s[0:1], s[18:19], 1
	s_and_b64 vcc, exec, s[0:1]
	s_cbranch_vccnz .LBB20_57
; %bb.23:
	s_load_dword s0, s[4:5], 0xc6c
	v_mov_b32_e32 v2, 0x10000
	v_mov_b32_e32 v3, 0
	v_cmp_lt_u64_e32 vcc, s[18:19], v[2:3]
	v_mul_f64 v[2:3], s[14:15], s[14:15]
	s_waitcnt lgkmcnt(0)
	s_and_b32 s29, s0, 0xffff
	s_and_b64 s[0:1], vcc, exec
	s_mov_b32 s0, 0
	v_fmac_f64_e64 v[2:3], s[12:13], s[12:13]
	s_mov_b32 s1, 0x3fd00000
	v_cmp_ngt_f64_e64 s[0:1], s[0:1], v[2:3]
	v_lshl_or_b32 v2, v0, 4, 8
	v_mov_b32_e32 v6, s9
	v_add_co_u32_e32 v38, vcc, s8, v2
	v_addc_co_u32_e32 v39, vcc, 0, v6, vcc
	v_mov_b32_e32 v7, s7
	v_add_co_u32_e32 v40, vcc, s6, v2
	v_mov_b32_e32 v1, 0
	v_addc_co_u32_e32 v41, vcc, 0, v7, vcc
	v_add_lshl_u32 v8, v0, s29, 4
	v_mov_b32_e32 v3, v1
	v_add_co_u32_e32 v42, vcc, s6, v8
	v_addc_co_u32_e32 v43, vcc, 0, v7, vcc
	v_mad_u64_u32 v[4:5], s[2:3], s29, 48, v[2:3]
	v_add_co_u32_e32 v44, vcc, s8, v4
	v_addc_co_u32_e32 v45, vcc, v6, v5, vcc
	v_add_co_u32_e32 v46, vcc, s8, v8
	v_addc_co_u32_e32 v47, vcc, 0, v6, vcc
	v_add_co_u32_e32 v48, vcc, s6, v4
	s_cselect_b32 s21, s19, 0
	s_cselect_b32 s20, s18, 0x10000
	v_addc_co_u32_e32 v49, vcc, v7, v5, vcc
	s_lshl_b32 s2, s29, 5
	v_add_co_u32_e32 v2, vcc, s2, v2
	v_addc_co_u32_e64 v3, s[2:3], 0, 0, vcc
	v_add_co_u32_e32 v50, vcc, s8, v2
	s_mov_b32 s28, 0
	v_addc_co_u32_e32 v51, vcc, v6, v3, vcc
	s_lshl_b32 s22, s29, 2
	s_mov_b32 s23, s28
	v_add_co_u32_e32 v52, vcc, s6, v2
	s_lshl_b32 s30, s29, 1
	s_mov_b32 s31, s28
	s_mul_i32 s33, s29, 3
	s_mov_b32 s34, s28
	v_add_f64 v[34:35], -s[12:13], 1.0
	v_add_f64 v[36:37], -s[14:15], 0
	s_lshl_b32 s35, s29, 6
	s_mov_b32 s36, s28
	v_addc_co_u32_e32 v53, vcc, v7, v3, vcc
	s_mov_b64 s[24:25], s[22:23]
	s_branch .LBB20_25
.LBB20_24:                              ;   in Loop: Header=BB20_25 Depth=1
	s_or_b64 exec, exec, s[2:3]
	v_pk_mov_b32 v[2:3], s[18:19], s[18:19] op_sel:[0,1]
	v_cmp_ge_i64_e32 vcc, s[24:25], v[2:3]
	v_mov_b32_e32 v2, 0xffff
	v_mov_b32_e32 v3, 0
	v_cmp_gt_u64_e64 s[2:3], s[24:25], v[2:3]
	s_or_b64 s[2:3], vcc, s[2:3]
	v_mov_b32_e32 v2, s23
	v_add_co_u32_e32 v0, vcc, s22, v0
	v_addc_co_u32_e32 v1, vcc, v1, v2, vcc
	v_mov_b32_e32 v2, s36
	v_add_co_u32_e32 v38, vcc, s35, v38
	v_addc_co_u32_e32 v39, vcc, v39, v2, vcc
	v_add_co_u32_e32 v40, vcc, s35, v40
	v_addc_co_u32_e32 v41, vcc, v41, v2, vcc
	;; [unrolled: 2-line block ×7, first 2 shown]
	v_add_co_u32_e32 v52, vcc, s35, v52
	s_add_u32 s24, s24, s22
	v_addc_co_u32_e32 v53, vcc, v53, v2, vcc
	s_addc_u32 s25, s25, 0
	s_and_b64 vcc, exec, s[2:3]
	s_cbranch_vccnz .LBB20_57
.LBB20_25:                              ; =>This Inner Loop Header: Depth=1
	v_pk_mov_b32 v[4:5], 0, 0
	v_cmp_gt_u64_e64 s[2:3], s[20:21], v[0:1]
	v_pk_mov_b32 v[24:25], v[4:5], v[4:5] op_sel:[0,1]
	v_pk_mov_b32 v[22:23], v[4:5], v[4:5] op_sel:[0,1]
	;; [unrolled: 1-line block ×4, first 2 shown]
	s_and_saveexec_b64 s[4:5], s[2:3]
	s_cbranch_execz .LBB20_27
; %bb.26:                               ;   in Loop: Header=BB20_25 Depth=1
	v_mov_b32_e32 v6, s17
	v_add_co_u32_e32 v2, vcc, s16, v38
	v_addc_co_u32_e32 v3, vcc, v39, v6, vcc
	v_add_co_u32_e32 v10, vcc, s16, v40
	v_addc_co_u32_e32 v11, vcc, v41, v6, vcc
	global_load_dwordx4 v[6:9], v[10:11], off offset:-8
	global_load_dwordx4 v[22:25], v[2:3], off offset:-8
.LBB20_27:                              ;   in Loop: Header=BB20_25 Depth=1
	s_or_b64 exec, exec, s[4:5]
	v_mov_b32_e32 v3, s28
	v_add_co_u32_e32 v2, vcc, s29, v0
	v_addc_co_u32_e32 v3, vcc, v3, v1, vcc
	v_cmp_gt_u64_e64 s[4:5], s[20:21], v[2:3]
	v_pk_mov_b32 v[2:3], v[4:5], v[4:5] op_sel:[0,1]
	v_pk_mov_b32 v[12:13], v[4:5], v[4:5] op_sel:[0,1]
	;; [unrolled: 1-line block ×3, first 2 shown]
	s_and_saveexec_b64 s[6:7], s[4:5]
	s_cbranch_execz .LBB20_29
; %bb.28:                               ;   in Loop: Header=BB20_25 Depth=1
	v_mov_b32_e32 v2, s17
	v_add_co_u32_e32 v14, vcc, s16, v46
	v_addc_co_u32_e32 v15, vcc, v47, v2, vcc
	v_add_co_u32_e32 v16, vcc, s16, v42
	v_addc_co_u32_e32 v17, vcc, v43, v2, vcc
	global_load_dwordx4 v[10:13], v[16:17], off
	global_load_dwordx4 v[2:5], v[14:15], off
.LBB20_29:                              ;   in Loop: Header=BB20_25 Depth=1
	s_or_b64 exec, exec, s[6:7]
	v_mov_b32_e32 v15, s31
	v_add_co_u32_e32 v14, vcc, s30, v0
	v_addc_co_u32_e32 v15, vcc, v15, v1, vcc
	v_pk_mov_b32 v[16:17], 0, 0
	v_cmp_gt_u64_e64 s[6:7], s[20:21], v[14:15]
	v_pk_mov_b32 v[32:33], v[16:17], v[16:17] op_sel:[0,1]
	v_pk_mov_b32 v[30:31], v[16:17], v[16:17] op_sel:[0,1]
	;; [unrolled: 1-line block ×4, first 2 shown]
	s_and_saveexec_b64 s[8:9], s[6:7]
	s_cbranch_execz .LBB20_31
; %bb.30:                               ;   in Loop: Header=BB20_25 Depth=1
	v_mov_b32_e32 v18, s17
	v_add_co_u32_e32 v14, vcc, s16, v50
	v_addc_co_u32_e32 v15, vcc, v51, v18, vcc
	v_add_co_u32_e32 v26, vcc, s16, v52
	v_addc_co_u32_e32 v27, vcc, v53, v18, vcc
	global_load_dwordx4 v[18:21], v[26:27], off offset:-8
	global_load_dwordx4 v[30:33], v[14:15], off offset:-8
.LBB20_31:                              ;   in Loop: Header=BB20_25 Depth=1
	s_or_b64 exec, exec, s[8:9]
	v_mov_b32_e32 v15, s34
	v_add_co_u32_e32 v14, vcc, s33, v0
	v_addc_co_u32_e32 v15, vcc, v15, v1, vcc
	v_cmp_gt_u64_e64 s[8:9], s[20:21], v[14:15]
	v_pk_mov_b32 v[14:15], v[16:17], v[16:17] op_sel:[0,1]
	v_pk_mov_b32 v[28:29], v[16:17], v[16:17] op_sel:[0,1]
	;; [unrolled: 1-line block ×3, first 2 shown]
	s_and_saveexec_b64 s[10:11], s[8:9]
	s_cbranch_execz .LBB20_33
; %bb.32:                               ;   in Loop: Header=BB20_25 Depth=1
	v_mov_b32_e32 v14, s17
	v_add_co_u32_e32 v54, vcc, s16, v44
	v_addc_co_u32_e32 v55, vcc, v45, v14, vcc
	v_add_co_u32_e32 v56, vcc, s16, v48
	v_addc_co_u32_e32 v57, vcc, v49, v14, vcc
	global_load_dwordx4 v[26:29], v[56:57], off offset:-8
	global_load_dwordx4 v[14:17], v[54:55], off offset:-8
.LBB20_33:                              ;   in Loop: Header=BB20_25 Depth=1
	s_or_b64 exec, exec, s[10:11]
	s_waitcnt vmcnt(0)
	v_add_f64 v[56:57], v[22:23], -v[6:7]
	v_add_f64 v[54:55], v[24:25], -v[8:9]
	s_and_b64 vcc, exec, s[0:1]
	s_cbranch_vccz .LBB20_49
; %bb.34:                               ;   in Loop: Header=BB20_25 Depth=1
	v_mul_f64 v[58:59], v[36:37], v[54:55]
	v_mul_f64 v[60:61], v[36:37], v[56:57]
	v_fma_f64 v[58:59], v[34:35], v[56:57], -v[58:59]
	v_fmac_f64_e32 v[60:61], v[34:35], v[54:55]
	v_add_f64 v[22:23], v[22:23], -v[58:59]
	v_add_f64 v[24:25], v[24:25], -v[60:61]
	s_cbranch_execnz .LBB20_36
.LBB20_35:                              ;   in Loop: Header=BB20_25 Depth=1
	v_mul_f64 v[22:23], s[14:15], v[54:55]
	v_mul_f64 v[24:25], s[14:15], v[56:57]
	v_fma_f64 v[22:23], s[12:13], v[56:57], -v[22:23]
	v_fmac_f64_e32 v[24:25], s[12:13], v[54:55]
	v_add_f64 v[22:23], v[6:7], v[22:23]
	v_add_f64 v[24:25], v[8:9], v[24:25]
.LBB20_36:                              ;   in Loop: Header=BB20_25 Depth=1
	v_cndmask_b32_e64 v8, 0, 1, s[0:1]
	v_add_f64 v[6:7], v[2:3], -v[10:11]
	v_cmp_ne_u32_e64 s[10:11], 1, v8
	s_andn2_b64 vcc, exec, s[0:1]
	v_add_f64 v[8:9], v[4:5], -v[12:13]
	s_cbranch_vccnz .LBB20_50
; %bb.37:                               ;   in Loop: Header=BB20_25 Depth=1
	v_mul_f64 v[54:55], v[36:37], v[8:9]
	v_mul_f64 v[56:57], v[36:37], v[6:7]
	v_fma_f64 v[54:55], v[34:35], v[6:7], -v[54:55]
	v_fmac_f64_e32 v[56:57], v[34:35], v[8:9]
	v_add_f64 v[2:3], v[2:3], -v[54:55]
	v_add_f64 v[4:5], v[4:5], -v[56:57]
	s_cbranch_execnz .LBB20_39
.LBB20_38:                              ;   in Loop: Header=BB20_25 Depth=1
	v_mul_f64 v[2:3], s[14:15], v[8:9]
	v_mul_f64 v[4:5], s[14:15], v[6:7]
	v_fma_f64 v[2:3], s[12:13], v[6:7], -v[2:3]
	v_fmac_f64_e32 v[4:5], s[12:13], v[8:9]
	v_add_f64 v[2:3], v[10:11], v[2:3]
	v_add_f64 v[4:5], v[12:13], v[4:5]
.LBB20_39:                              ;   in Loop: Header=BB20_25 Depth=1
	v_add_f64 v[10:11], v[30:31], -v[18:19]
	s_and_b64 vcc, exec, s[10:11]
	v_add_f64 v[12:13], v[32:33], -v[20:21]
	s_cbranch_vccnz .LBB20_51
; %bb.40:                               ;   in Loop: Header=BB20_25 Depth=1
	v_mul_f64 v[6:7], v[36:37], v[12:13]
	v_mul_f64 v[8:9], v[36:37], v[10:11]
	v_fma_f64 v[6:7], v[34:35], v[10:11], -v[6:7]
	v_fmac_f64_e32 v[8:9], v[34:35], v[12:13]
	v_add_f64 v[6:7], v[30:31], -v[6:7]
	v_add_f64 v[8:9], v[32:33], -v[8:9]
	s_cbranch_execnz .LBB20_42
.LBB20_41:                              ;   in Loop: Header=BB20_25 Depth=1
	v_mul_f64 v[6:7], s[14:15], v[12:13]
	v_mul_f64 v[8:9], s[14:15], v[10:11]
	v_fma_f64 v[6:7], s[12:13], v[10:11], -v[6:7]
	v_fmac_f64_e32 v[8:9], s[12:13], v[12:13]
	v_add_f64 v[6:7], v[18:19], v[6:7]
	v_add_f64 v[8:9], v[20:21], v[8:9]
.LBB20_42:                              ;   in Loop: Header=BB20_25 Depth=1
	v_add_f64 v[18:19], v[14:15], -v[26:27]
	s_and_b64 vcc, exec, s[10:11]
	v_add_f64 v[20:21], v[16:17], -v[28:29]
	s_cbranch_vccnz .LBB20_52
; %bb.43:                               ;   in Loop: Header=BB20_25 Depth=1
	v_mul_f64 v[10:11], v[36:37], v[20:21]
	v_mul_f64 v[12:13], v[36:37], v[18:19]
	v_fma_f64 v[10:11], v[34:35], v[18:19], -v[10:11]
	v_fmac_f64_e32 v[12:13], v[34:35], v[20:21]
	v_add_f64 v[10:11], v[14:15], -v[10:11]
	v_add_f64 v[12:13], v[16:17], -v[12:13]
	s_cbranch_execnz .LBB20_45
.LBB20_44:                              ;   in Loop: Header=BB20_25 Depth=1
	v_mul_f64 v[10:11], s[14:15], v[20:21]
	v_mul_f64 v[12:13], s[14:15], v[18:19]
	v_fma_f64 v[10:11], s[12:13], v[18:19], -v[10:11]
	v_fmac_f64_e32 v[12:13], s[12:13], v[20:21]
	v_add_f64 v[10:11], v[26:27], v[10:11]
	v_add_f64 v[12:13], v[28:29], v[12:13]
.LBB20_45:                              ;   in Loop: Header=BB20_25 Depth=1
	s_and_saveexec_b64 s[10:11], s[2:3]
	s_xor_b64 s[2:3], exec, s[10:11]
	s_cbranch_execnz .LBB20_53
; %bb.46:                               ;   in Loop: Header=BB20_25 Depth=1
	s_or_b64 exec, exec, s[2:3]
	s_and_saveexec_b64 s[2:3], s[4:5]
	s_cbranch_execnz .LBB20_54
.LBB20_47:                              ;   in Loop: Header=BB20_25 Depth=1
	s_or_b64 exec, exec, s[2:3]
	s_and_saveexec_b64 s[2:3], s[6:7]
	s_cbranch_execnz .LBB20_55
.LBB20_48:                              ;   in Loop: Header=BB20_25 Depth=1
	s_or_b64 exec, exec, s[2:3]
	s_and_saveexec_b64 s[2:3], s[8:9]
	s_cbranch_execz .LBB20_24
	s_branch .LBB20_56
.LBB20_49:                              ;   in Loop: Header=BB20_25 Depth=1
                                        ; implicit-def: $vgpr24_vgpr25
	s_branch .LBB20_35
.LBB20_50:                              ;   in Loop: Header=BB20_25 Depth=1
                                        ; implicit-def: $vgpr4_vgpr5
	s_branch .LBB20_38
.LBB20_51:                              ;   in Loop: Header=BB20_25 Depth=1
                                        ; implicit-def: $vgpr8_vgpr9
	s_branch .LBB20_41
.LBB20_52:                              ;   in Loop: Header=BB20_25 Depth=1
                                        ; implicit-def: $vgpr12_vgpr13
	s_branch .LBB20_44
.LBB20_53:                              ;   in Loop: Header=BB20_25 Depth=1
	v_mov_b32_e32 v15, s17
	v_add_co_u32_e32 v14, vcc, s16, v40
	v_addc_co_u32_e32 v15, vcc, v41, v15, vcc
	global_store_dwordx4 v[14:15], v[22:25], off offset:-8
	s_or_b64 exec, exec, s[2:3]
	s_and_saveexec_b64 s[2:3], s[4:5]
	s_cbranch_execz .LBB20_47
.LBB20_54:                              ;   in Loop: Header=BB20_25 Depth=1
	v_mov_b32_e32 v15, s17
	v_add_co_u32_e32 v14, vcc, s16, v42
	v_addc_co_u32_e32 v15, vcc, v43, v15, vcc
	global_store_dwordx4 v[14:15], v[2:5], off
	s_or_b64 exec, exec, s[2:3]
	s_and_saveexec_b64 s[2:3], s[6:7]
	s_cbranch_execz .LBB20_48
.LBB20_55:                              ;   in Loop: Header=BB20_25 Depth=1
	v_mov_b32_e32 v3, s17
	v_add_co_u32_e32 v2, vcc, s16, v52
	v_addc_co_u32_e32 v3, vcc, v53, v3, vcc
	global_store_dwordx4 v[2:3], v[6:9], off offset:-8
	s_or_b64 exec, exec, s[2:3]
	s_and_saveexec_b64 s[2:3], s[8:9]
	s_cbranch_execz .LBB20_24
.LBB20_56:                              ;   in Loop: Header=BB20_25 Depth=1
	v_mov_b32_e32 v3, s17
	v_add_co_u32_e32 v2, vcc, s16, v48
	v_addc_co_u32_e32 v3, vcc, v49, v3, vcc
	global_store_dwordx4 v[2:3], v[10:13], off offset:-8
	s_branch .LBB20_24
.LBB20_57:
	s_endpgm
	.section	.rodata,"a",@progbits
	.p2align	6, 0x0
	.amdhsa_kernel _ZN2at6native12_GLOBAL__N_125multi_tensor_apply_kernelINS1_18TensorListMetadataILi2EEENS1_22TernaryOpScalarFunctorIN3c107complexIdEELi2ELi2ELi0EEEJNS0_11LerpFunctorIS8_EES8_EEEvT_T0_DpT1_
		.amdhsa_group_segment_fixed_size 0
		.amdhsa_private_segment_fixed_size 0
		.amdhsa_kernarg_size 3424
		.amdhsa_user_sgpr_count 6
		.amdhsa_user_sgpr_private_segment_buffer 1
		.amdhsa_user_sgpr_dispatch_ptr 0
		.amdhsa_user_sgpr_queue_ptr 0
		.amdhsa_user_sgpr_kernarg_segment_ptr 1
		.amdhsa_user_sgpr_dispatch_id 0
		.amdhsa_user_sgpr_flat_scratch_init 0
		.amdhsa_user_sgpr_kernarg_preload_length 0
		.amdhsa_user_sgpr_kernarg_preload_offset 0
		.amdhsa_user_sgpr_private_segment_size 0
		.amdhsa_uses_dynamic_stack 0
		.amdhsa_system_sgpr_private_segment_wavefront_offset 0
		.amdhsa_system_sgpr_workgroup_id_x 1
		.amdhsa_system_sgpr_workgroup_id_y 0
		.amdhsa_system_sgpr_workgroup_id_z 0
		.amdhsa_system_sgpr_workgroup_info 0
		.amdhsa_system_vgpr_workitem_id 0
		.amdhsa_next_free_vgpr 62
		.amdhsa_next_free_sgpr 37
		.amdhsa_accum_offset 64
		.amdhsa_reserve_vcc 1
		.amdhsa_reserve_flat_scratch 0
		.amdhsa_float_round_mode_32 0
		.amdhsa_float_round_mode_16_64 0
		.amdhsa_float_denorm_mode_32 3
		.amdhsa_float_denorm_mode_16_64 3
		.amdhsa_dx10_clamp 1
		.amdhsa_ieee_mode 1
		.amdhsa_fp16_overflow 0
		.amdhsa_tg_split 0
		.amdhsa_exception_fp_ieee_invalid_op 0
		.amdhsa_exception_fp_denorm_src 0
		.amdhsa_exception_fp_ieee_div_zero 0
		.amdhsa_exception_fp_ieee_overflow 0
		.amdhsa_exception_fp_ieee_underflow 0
		.amdhsa_exception_fp_ieee_inexact 0
		.amdhsa_exception_int_div_zero 0
	.end_amdhsa_kernel
	.section	.text._ZN2at6native12_GLOBAL__N_125multi_tensor_apply_kernelINS1_18TensorListMetadataILi2EEENS1_22TernaryOpScalarFunctorIN3c107complexIdEELi2ELi2ELi0EEEJNS0_11LerpFunctorIS8_EES8_EEEvT_T0_DpT1_,"axG",@progbits,_ZN2at6native12_GLOBAL__N_125multi_tensor_apply_kernelINS1_18TensorListMetadataILi2EEENS1_22TernaryOpScalarFunctorIN3c107complexIdEELi2ELi2ELi0EEEJNS0_11LerpFunctorIS8_EES8_EEEvT_T0_DpT1_,comdat
.Lfunc_end20:
	.size	_ZN2at6native12_GLOBAL__N_125multi_tensor_apply_kernelINS1_18TensorListMetadataILi2EEENS1_22TernaryOpScalarFunctorIN3c107complexIdEELi2ELi2ELi0EEEJNS0_11LerpFunctorIS8_EES8_EEEvT_T0_DpT1_, .Lfunc_end20-_ZN2at6native12_GLOBAL__N_125multi_tensor_apply_kernelINS1_18TensorListMetadataILi2EEENS1_22TernaryOpScalarFunctorIN3c107complexIdEELi2ELi2ELi0EEEJNS0_11LerpFunctorIS8_EES8_EEEvT_T0_DpT1_
                                        ; -- End function
	.section	.AMDGPU.csdata,"",@progbits
; Kernel info:
; codeLenInByte = 2492
; NumSgprs: 41
; NumVgprs: 62
; NumAgprs: 0
; TotalNumVgprs: 62
; ScratchSize: 0
; MemoryBound: 1
; FloatMode: 240
; IeeeMode: 1
; LDSByteSize: 0 bytes/workgroup (compile time only)
; SGPRBlocks: 5
; VGPRBlocks: 7
; NumSGPRsForWavesPerEU: 41
; NumVGPRsForWavesPerEU: 62
; AccumOffset: 64
; Occupancy: 8
; WaveLimiterHint : 0
; COMPUTE_PGM_RSRC2:SCRATCH_EN: 0
; COMPUTE_PGM_RSRC2:USER_SGPR: 6
; COMPUTE_PGM_RSRC2:TRAP_HANDLER: 0
; COMPUTE_PGM_RSRC2:TGID_X_EN: 1
; COMPUTE_PGM_RSRC2:TGID_Y_EN: 0
; COMPUTE_PGM_RSRC2:TGID_Z_EN: 0
; COMPUTE_PGM_RSRC2:TIDIG_COMP_CNT: 0
; COMPUTE_PGM_RSRC3_GFX90A:ACCUM_OFFSET: 15
; COMPUTE_PGM_RSRC3_GFX90A:TG_SPLIT: 0
	.section	.text._ZN2at6native12_GLOBAL__N_125multi_tensor_apply_kernelINS1_18TensorListMetadataILi2EEENS1_22TernaryOpScalarFunctorIN3c107complexIfEELi2ELi2ELi0EEEJNS0_11LerpFunctorIS8_EES8_EEEvT_T0_DpT1_,"axG",@progbits,_ZN2at6native12_GLOBAL__N_125multi_tensor_apply_kernelINS1_18TensorListMetadataILi2EEENS1_22TernaryOpScalarFunctorIN3c107complexIfEELi2ELi2ELi0EEEJNS0_11LerpFunctorIS8_EES8_EEEvT_T0_DpT1_,comdat
	.globl	_ZN2at6native12_GLOBAL__N_125multi_tensor_apply_kernelINS1_18TensorListMetadataILi2EEENS1_22TernaryOpScalarFunctorIN3c107complexIfEELi2ELi2ELi0EEEJNS0_11LerpFunctorIS8_EES8_EEEvT_T0_DpT1_ ; -- Begin function _ZN2at6native12_GLOBAL__N_125multi_tensor_apply_kernelINS1_18TensorListMetadataILi2EEENS1_22TernaryOpScalarFunctorIN3c107complexIfEELi2ELi2ELi0EEEJNS0_11LerpFunctorIS8_EES8_EEEvT_T0_DpT1_
	.p2align	8
	.type	_ZN2at6native12_GLOBAL__N_125multi_tensor_apply_kernelINS1_18TensorListMetadataILi2EEENS1_22TernaryOpScalarFunctorIN3c107complexIfEELi2ELi2ELi0EEEJNS0_11LerpFunctorIS8_EES8_EEEvT_T0_DpT1_,@function
_ZN2at6native12_GLOBAL__N_125multi_tensor_apply_kernelINS1_18TensorListMetadataILi2EEENS1_22TernaryOpScalarFunctorIN3c107complexIfEELi2ELi2ELi0EEEJNS0_11LerpFunctorIS8_EES8_EEEvT_T0_DpT1_: ; @_ZN2at6native12_GLOBAL__N_125multi_tensor_apply_kernelINS1_18TensorListMetadataILi2EEENS1_22TernaryOpScalarFunctorIN3c107complexIfEELi2ELi2ELi0EEEJNS0_11LerpFunctorIS8_EES8_EEEvT_T0_DpT1_
; %bb.0:
	v_mov_b32_e32 v1, s6
	global_load_ubyte v1, v1, s[4:5] offset:1536
	s_add_u32 s0, s4, s6
	s_mul_hi_u32 s2, s6, 3
	s_mul_i32 s6, s6, 3
	s_addc_u32 s7, s5, 0
	s_add_u32 s6, s0, s6
	s_addc_u32 s7, s7, s2
	s_load_dword s6, s[6:7], 0x740
	s_mov_b32 s1, 0
	s_mov_b32 s3, s1
	;; [unrolled: 1-line block ×3, first 2 shown]
	s_waitcnt lgkmcnt(0)
	s_ashr_i32 s7, s6, 31
	s_lshl_b64 s[14:15], s[6:7], 19
	s_waitcnt vmcnt(0)
	v_readfirstlane_b32 s0, v1
	s_lshl_b32 s0, s0, 3
	s_load_dwordx2 s[10:11], s[4:5], s0 offset:0x0
	s_load_dwordx2 s[12:13], s[4:5], 0xc50
	s_load_dwordx2 s[16:17], s[4:5], s0 offset:0x400
	s_load_dwordx2 s[8:9], s[4:5], s0 offset:0x200
	s_waitcnt lgkmcnt(0)
	s_add_u32 s24, s10, s14
	s_addc_u32 s25, s11, s15
	s_add_u32 s26, s8, s14
	s_addc_u32 s27, s9, s15
	s_and_b32 s2, s24, 31
	s_and_b32 s18, s16, 3
	;; [unrolled: 1-line block ×3, first 2 shown]
	s_or_b64 s[2:3], s[2:3], s[18:19]
	s_lshl_b64 s[6:7], s[6:7], 16
	s_or_b64 s[0:1], s[0:1], s[2:3]
	s_sub_u32 s16, s16, s6
	s_subb_u32 s17, s17, s7
	s_cmp_eq_u64 s[0:1], 0
	s_mov_b64 s[0:1], -1
	s_cbranch_scc0 .LBB21_21
; %bb.1:
	v_mov_b32_e32 v19, 0
	v_lshlrev_b32_e32 v18, 2, v0
	v_cmp_gt_i64_e32 vcc, s[16:17], v[18:19]
	s_and_saveexec_b64 s[18:19], vcc
	s_cbranch_execz .LBB21_20
; %bb.2:
	s_load_dword s0, s[4:5], 0xc64
	v_pk_mul_f32 v[2:3], s[12:13], s[12:13]
	v_add_f32_e32 v1, v2, v3
	s_mov_b32 s1, 0x3e800000
	v_mov_b32_e32 v18, 1.0
	s_waitcnt lgkmcnt(0)
	s_and_b32 s0, s0, 0xffff
	v_pk_add_f32 v[20:21], s[12:13], v[18:19] neg_lo:[1,0] neg_hi:[1,0]
	v_add_lshl_u32 v18, v0, s0, 2
	s_lshl_b32 s29, s0, 2
	s_lshl_b32 s30, s0, 5
	v_cmp_ngt_f32_e64 s[0:1], s1, v1
	v_cndmask_b32_e64 v1, 0, 1, s[0:1]
	s_mov_b32 s28, 0
	v_lshlrev_b32_e32 v22, 5, v0
	s_mov_b64 s[20:21], 0
	s_mov_b64 s[22:23], 0xffff
	v_cmp_ne_u32_e64 s[2:3], 1, v1
	s_branch .LBB21_4
.LBB21_3:                               ;   in Loop: Header=BB21_4 Depth=1
	v_cmp_le_i64_e32 vcc, s[16:17], v[18:19]
	v_cmp_lt_u64_e64 s[6:7], s[22:23], v[18:19]
	s_or_b64 s[6:7], vcc, s[6:7]
	s_add_u32 s24, s24, s30
	s_addc_u32 s25, s25, 0
	s_add_u32 s26, s26, s30
	s_addc_u32 s27, s27, 0
	v_mov_b32_e32 v1, s28
	s_and_b64 s[6:7], exec, s[6:7]
	v_add_co_u32_e32 v18, vcc, s29, v18
	s_or_b64 s[20:21], s[6:7], s[20:21]
	v_addc_co_u32_e32 v19, vcc, v19, v1, vcc
	global_store_dwordx4 v[24:25], v[6:9], off
	global_store_dwordx4 v[24:25], v[10:13], off offset:16
	s_andn2_b64 exec, exec, s[20:21]
	s_cbranch_execz .LBB21_20
.LBB21_4:                               ; =>This Inner Loop Header: Depth=1
	v_mov_b32_e32 v1, s25
	v_add_co_u32_e32 v24, vcc, s24, v22
	v_addc_co_u32_e32 v25, vcc, 0, v1, vcc
	v_mov_b32_e32 v1, s27
	v_add_co_u32_e32 v26, vcc, s26, v22
	v_addc_co_u32_e32 v27, vcc, 0, v1, vcc
	global_load_dwordx4 v[14:17], v[24:25], off
	global_load_dwordx4 v[6:9], v[26:27], off
	global_load_dwordx4 v[2:5], v[24:25], off offset:16
	global_load_dwordx4 v[10:13], v[26:27], off offset:16
	s_and_b64 vcc, exec, s[0:1]
	s_waitcnt vmcnt(2)
	v_pk_add_f32 v[26:27], v[6:7], v[14:15] neg_lo:[0,1] neg_hi:[0,1]
	s_cbranch_vccz .LBB21_6
; %bb.5:                                ;   in Loop: Header=BB21_4 Depth=1
	v_pk_mul_f32 v[28:29], v[20:21], v[26:27] op_sel:[0,1]
	v_pk_fma_f32 v[30:31], v[20:21], v[26:27], v[28:29] op_sel:[0,0,1] op_sel_hi:[1,1,0] neg_lo:[0,0,1] neg_hi:[0,0,1]
	v_pk_fma_f32 v[28:29], v[20:21], v[26:27], v[28:29] op_sel:[0,0,1] op_sel_hi:[1,0,0]
	v_mov_b32_e32 v31, v29
	v_pk_add_f32 v[6:7], v[6:7], v[30:31] neg_lo:[0,1] neg_hi:[0,1]
	s_cbranch_execz .LBB21_7
	s_branch .LBB21_8
.LBB21_6:                               ;   in Loop: Header=BB21_4 Depth=1
                                        ; implicit-def: $vgpr6_vgpr7
.LBB21_7:                               ;   in Loop: Header=BB21_4 Depth=1
	v_pk_mul_f32 v[6:7], v[26:27], s[12:13] op_sel:[1,0]
	v_pk_fma_f32 v[28:29], v[26:27], s[12:13], v[6:7] op_sel:[0,0,1] op_sel_hi:[1,1,0] neg_lo:[0,0,1] neg_hi:[0,0,1]
	v_pk_fma_f32 v[6:7], v[26:27], s[12:13], v[6:7] op_sel:[0,0,1] op_sel_hi:[0,1,0]
	v_mov_b32_e32 v29, v7
	v_pk_add_f32 v[6:7], v[14:15], v[28:29]
.LBB21_8:                               ;   in Loop: Header=BB21_4 Depth=1
	s_and_b64 vcc, exec, s[2:3]
	v_pk_add_f32 v[14:15], v[8:9], v[16:17] neg_lo:[0,1] neg_hi:[0,1]
	s_cbranch_vccnz .LBB21_10
; %bb.9:                                ;   in Loop: Header=BB21_4 Depth=1
	v_pk_mul_f32 v[26:27], v[20:21], v[14:15] op_sel:[0,1]
	v_pk_fma_f32 v[28:29], v[20:21], v[14:15], v[26:27] op_sel:[0,0,1] op_sel_hi:[1,1,0] neg_lo:[0,0,1] neg_hi:[0,0,1]
	v_pk_fma_f32 v[26:27], v[20:21], v[14:15], v[26:27] op_sel:[0,0,1] op_sel_hi:[1,0,0]
	v_mov_b32_e32 v29, v27
	v_pk_add_f32 v[8:9], v[8:9], v[28:29] neg_lo:[0,1] neg_hi:[0,1]
	s_cbranch_execz .LBB21_11
	s_branch .LBB21_12
.LBB21_10:                              ;   in Loop: Header=BB21_4 Depth=1
.LBB21_11:                              ;   in Loop: Header=BB21_4 Depth=1
	v_pk_mul_f32 v[8:9], v[14:15], s[12:13] op_sel:[1,0]
	v_pk_fma_f32 v[26:27], v[14:15], s[12:13], v[8:9] op_sel:[0,0,1] op_sel_hi:[1,1,0] neg_lo:[0,0,1] neg_hi:[0,0,1]
	v_pk_fma_f32 v[8:9], v[14:15], s[12:13], v[8:9] op_sel:[0,0,1] op_sel_hi:[0,1,0]
	v_mov_b32_e32 v27, v9
	v_pk_add_f32 v[8:9], v[16:17], v[26:27]
.LBB21_12:                              ;   in Loop: Header=BB21_4 Depth=1
	s_and_b64 vcc, exec, s[2:3]
	s_waitcnt vmcnt(0)
	v_pk_add_f32 v[14:15], v[10:11], v[2:3] neg_lo:[0,1] neg_hi:[0,1]
	s_cbranch_vccnz .LBB21_14
; %bb.13:                               ;   in Loop: Header=BB21_4 Depth=1
	v_pk_mul_f32 v[16:17], v[20:21], v[14:15] op_sel:[0,1]
	v_pk_fma_f32 v[26:27], v[20:21], v[14:15], v[16:17] op_sel:[0,0,1] op_sel_hi:[1,1,0] neg_lo:[0,0,1] neg_hi:[0,0,1]
	v_pk_fma_f32 v[16:17], v[20:21], v[14:15], v[16:17] op_sel:[0,0,1] op_sel_hi:[1,0,0]
	v_mov_b32_e32 v27, v17
	v_pk_add_f32 v[10:11], v[10:11], v[26:27] neg_lo:[0,1] neg_hi:[0,1]
	s_cbranch_execz .LBB21_15
	s_branch .LBB21_16
.LBB21_14:                              ;   in Loop: Header=BB21_4 Depth=1
                                        ; implicit-def: $vgpr10_vgpr11
.LBB21_15:                              ;   in Loop: Header=BB21_4 Depth=1
	v_pk_mul_f32 v[10:11], v[14:15], s[12:13] op_sel:[1,0]
	v_pk_fma_f32 v[16:17], v[14:15], s[12:13], v[10:11] op_sel:[0,0,1] op_sel_hi:[1,1,0] neg_lo:[0,0,1] neg_hi:[0,0,1]
	v_pk_fma_f32 v[10:11], v[14:15], s[12:13], v[10:11] op_sel:[0,0,1] op_sel_hi:[0,1,0]
	v_mov_b32_e32 v17, v11
	v_pk_add_f32 v[10:11], v[2:3], v[16:17]
.LBB21_16:                              ;   in Loop: Header=BB21_4 Depth=1
	s_and_b64 vcc, exec, s[2:3]
	v_pk_add_f32 v[2:3], v[12:13], v[4:5] neg_lo:[0,1] neg_hi:[0,1]
	s_cbranch_vccnz .LBB21_18
; %bb.17:                               ;   in Loop: Header=BB21_4 Depth=1
	v_pk_mul_f32 v[14:15], v[20:21], v[2:3] op_sel:[0,1]
	v_pk_fma_f32 v[16:17], v[20:21], v[2:3], v[14:15] op_sel:[0,0,1] op_sel_hi:[1,1,0] neg_lo:[0,0,1] neg_hi:[0,0,1]
	v_pk_fma_f32 v[14:15], v[20:21], v[2:3], v[14:15] op_sel:[0,0,1] op_sel_hi:[1,0,0]
	v_mov_b32_e32 v17, v15
	v_pk_add_f32 v[12:13], v[12:13], v[16:17] neg_lo:[0,1] neg_hi:[0,1]
	s_cbranch_execnz .LBB21_3
	s_branch .LBB21_19
.LBB21_18:                              ;   in Loop: Header=BB21_4 Depth=1
.LBB21_19:                              ;   in Loop: Header=BB21_4 Depth=1
	v_pk_mul_f32 v[12:13], v[2:3], s[12:13] op_sel:[1,0]
	v_pk_fma_f32 v[14:15], v[2:3], s[12:13], v[12:13] op_sel:[0,0,1] op_sel_hi:[1,1,0] neg_lo:[0,0,1] neg_hi:[0,0,1]
	v_pk_fma_f32 v[2:3], v[2:3], s[12:13], v[12:13] op_sel:[0,0,1] op_sel_hi:[0,1,0]
	v_mov_b32_e32 v15, v3
	v_pk_add_f32 v[12:13], v[4:5], v[14:15]
	s_branch .LBB21_3
.LBB21_20:
	s_or_b64 exec, exec, s[18:19]
	s_mov_b64 s[0:1], 0
.LBB21_21:
	s_andn2_b64 vcc, exec, s[0:1]
	s_cbranch_vccnz .LBB21_57
; %bb.22:
	v_cmp_lt_i64_e64 s[0:1], s[16:17], 1
	s_and_b64 vcc, exec, s[0:1]
	s_cbranch_vccnz .LBB21_57
; %bb.23:
	s_load_dword s0, s[4:5], 0xc64
	v_mov_b32_e32 v2, 0x10000
	v_mov_b32_e32 v3, 0
	v_cmp_lt_u64_e32 vcc, s[16:17], v[2:3]
	v_pk_mul_f32 v[2:3], s[12:13], s[12:13]
	s_waitcnt lgkmcnt(0)
	s_and_b32 s4, s0, 0xffff
	s_and_b64 s[0:1], vcc, exec
	v_lshlrev_b32_e32 v14, 3, v0
	v_add_f32_e32 v1, v2, v3
	s_mov_b32 s0, 0x3e800000
	v_mov_b32_e32 v17, s11
	v_add_co_u32_e32 v6, vcc, s10, v14
	v_cmp_ngt_f32_e64 s[0:1], s0, v1
	v_addc_co_u32_e32 v1, vcc, 0, v17, vcc
	v_mov_b32_e32 v15, 0
	v_mov_b32_e32 v19, s9
	v_add_co_u32_e32 v8, vcc, s8, v14
	v_addc_co_u32_e32 v7, vcc, 0, v19, vcc
	v_mad_u64_u32 v[12:13], s[2:3], s4, 24, v[14:15]
	v_add_co_u32_e32 v10, vcc, s10, v12
	v_addc_co_u32_e32 v9, vcc, v17, v13, vcc
	v_add_co_u32_e32 v12, vcc, s8, v12
	s_mul_i32 s6, s4, 3
	v_addc_co_u32_e32 v11, vcc, v19, v13, vcc
	v_add_co_u32_e32 v21, vcc, s6, v0
	v_addc_co_u32_e64 v42, s[2:3], 0, 0, vcc
	s_cselect_b32 s19, s17, 0
	s_cselect_b32 s18, s16, 0x10000
	s_lshl_b32 s2, s4, 4
	v_add_co_u32_e32 v15, vcc, s2, v14
	v_addc_co_u32_e64 v18, s[2:3], 0, 0, vcc
	v_add_co_u32_e32 v14, vcc, s10, v15
	v_addc_co_u32_e32 v13, vcc, v17, v18, vcc
	v_add_co_u32_e32 v16, vcc, s8, v15
	s_lshl_b32 s5, s4, 1
	v_addc_co_u32_e32 v15, vcc, v19, v18, vcc
	v_add_co_u32_e32 v43, vcc, s5, v0
	v_addc_co_u32_e64 v44, s[2:3], 0, 0, vcc
	v_add_co_u32_e32 v45, vcc, s4, v0
	v_lshlrev_b32_e32 v20, 3, v45
	v_addc_co_u32_e64 v46, s[2:3], 0, 0, vcc
	v_add_co_u32_e32 v18, vcc, s10, v20
	v_addc_co_u32_e32 v17, vcc, 0, v17, vcc
	v_sub_f32_e64 v2, 1.0, s12
	v_sub_f32_e64 v4, 0, s13
	v_add_co_u32_e32 v20, vcc, s8, v20
	s_mov_b32 s26, 0
	s_lshl_b32 s27, s4, 2
	s_mov_b32 s20, s12
	s_mov_b32 s21, s12
	v_mov_b32_e32 v3, v2
	v_mov_b32_e32 v5, v4
	s_mov_b32 s12, s13
	s_lshl_b32 s28, s4, 5
	v_addc_co_u32_e32 v19, vcc, 0, v19, vcc
	s_mov_b64 s[22:23], 0
	s_branch .LBB21_25
.LBB21_24:                              ;   in Loop: Header=BB21_25 Depth=1
	s_or_b64 exec, exec, s[2:3]
	s_add_u32 s22, s22, s27
	s_addc_u32 s23, s23, 0
	v_pk_mov_b32 v[22:23], s[16:17], s[16:17] op_sel:[0,1]
	v_cmp_ge_i64_e32 vcc, s[22:23], v[22:23]
	v_mov_b32_e32 v22, 0xffff
	v_mov_b32_e32 v23, 0
	v_cmp_gt_u64_e64 s[2:3], s[22:23], v[22:23]
	s_or_b64 s[2:3], vcc, s[2:3]
	v_mov_b32_e32 v22, s26
	v_add_co_u32_e32 v6, vcc, s28, v6
	v_addc_co_u32_e32 v1, vcc, v1, v22, vcc
	v_add_co_u32_e32 v8, vcc, s28, v8
	v_addc_co_u32_e32 v7, vcc, v7, v22, vcc
	;; [unrolled: 2-line block ×8, first 2 shown]
	s_and_b64 vcc, exec, s[2:3]
	s_cbranch_vccnz .LBB21_57
.LBB21_25:                              ; =>This Inner Loop Header: Depth=1
	v_mov_b32_e32 v23, s23
	v_add_co_u32_e32 v22, vcc, s22, v0
	v_addc_co_u32_e32 v23, vcc, 0, v23, vcc
	v_cmp_gt_u64_e64 s[2:3], s[18:19], v[22:23]
	v_mov_b32_e32 v26, 0
	v_mov_b32_e32 v27, 0
	;; [unrolled: 1-line block ×4, first 2 shown]
	s_and_saveexec_b64 s[4:5], s[2:3]
	s_cbranch_execz .LBB21_27
; %bb.26:                               ;   in Loop: Header=BB21_25 Depth=1
	v_mov_b32_e32 v25, s15
	v_add_co_u32_e32 v22, vcc, s14, v8
	v_addc_co_u32_e32 v23, vcc, v7, v25, vcc
	v_add_co_u32_e32 v24, vcc, s14, v6
	v_addc_co_u32_e32 v25, vcc, v1, v25, vcc
	global_load_dwordx2 v[26:27], v[24:25], off
	global_load_dwordx2 v[34:35], v[22:23], off
.LBB21_27:                              ;   in Loop: Header=BB21_25 Depth=1
	s_or_b64 exec, exec, s[4:5]
	v_mov_b32_e32 v23, s23
	v_add_co_u32_e32 v22, vcc, s22, v45
	v_addc_co_u32_e32 v23, vcc, v46, v23, vcc
	v_cmp_gt_u64_e64 s[4:5], s[18:19], v[22:23]
	v_mov_b32_e32 v22, 0
	v_mov_b32_e32 v24, 0
	;; [unrolled: 1-line block ×5, first 2 shown]
	s_and_saveexec_b64 s[6:7], s[4:5]
	s_cbranch_execz .LBB21_29
; %bb.28:                               ;   in Loop: Header=BB21_25 Depth=1
	v_mov_b32_e32 v23, s15
	v_add_co_u32_e32 v28, vcc, s14, v20
	v_addc_co_u32_e32 v29, vcc, v19, v23, vcc
	v_add_co_u32_e32 v32, vcc, s14, v18
	v_addc_co_u32_e32 v33, vcc, v17, v23, vcc
	global_load_dwordx2 v[24:25], v[32:33], off
	global_load_dwordx2 v[30:31], v[28:29], off
.LBB21_29:                              ;   in Loop: Header=BB21_25 Depth=1
	s_or_b64 exec, exec, s[6:7]
	v_mov_b32_e32 v23, s23
	v_add_co_u32_e32 v28, vcc, s22, v43
	v_addc_co_u32_e32 v29, vcc, v44, v23, vcc
	v_cmp_gt_u64_e64 s[6:7], s[18:19], v[28:29]
	v_mov_b32_e32 v23, 0
	v_mov_b32_e32 v32, 0
	;; [unrolled: 1-line block ×3, first 2 shown]
	s_and_saveexec_b64 s[8:9], s[6:7]
	s_cbranch_execz .LBB21_31
; %bb.30:                               ;   in Loop: Header=BB21_25 Depth=1
	v_mov_b32_e32 v22, s15
	v_add_co_u32_e32 v28, vcc, s14, v16
	v_addc_co_u32_e32 v29, vcc, v15, v22, vcc
	v_add_co_u32_e32 v36, vcc, s14, v14
	v_addc_co_u32_e32 v37, vcc, v13, v22, vcc
	global_load_dwordx2 v[22:23], v[36:37], off
	global_load_dwordx2 v[32:33], v[28:29], off
.LBB21_31:                              ;   in Loop: Header=BB21_25 Depth=1
	s_or_b64 exec, exec, s[8:9]
	v_mov_b32_e32 v29, s23
	v_add_co_u32_e32 v28, vcc, s22, v21
	v_addc_co_u32_e32 v29, vcc, v42, v29, vcc
	v_cmp_gt_u64_e64 s[8:9], s[18:19], v[28:29]
	v_mov_b32_e32 v28, 0
	v_mov_b32_e32 v29, v28
	v_mov_b32_e32 v36, v28
	v_mov_b32_e32 v37, v28
	s_and_saveexec_b64 s[10:11], s[8:9]
	s_cbranch_execz .LBB21_33
; %bb.32:                               ;   in Loop: Header=BB21_25 Depth=1
	v_mov_b32_e32 v28, s15
	v_add_co_u32_e32 v38, vcc, s14, v12
	v_addc_co_u32_e32 v39, vcc, v11, v28, vcc
	v_add_co_u32_e32 v40, vcc, s14, v10
	v_addc_co_u32_e32 v41, vcc, v9, v28, vcc
	global_load_dwordx2 v[28:29], v[40:41], off
	global_load_dwordx2 v[36:37], v[38:39], off
.LBB21_33:                              ;   in Loop: Header=BB21_25 Depth=1
	s_or_b64 exec, exec, s[10:11]
	s_waitcnt vmcnt(0)
	v_pk_add_f32 v[38:39], v[34:35], v[26:27] neg_lo:[0,1] neg_hi:[0,1]
	v_mov_b32_e32 v40, v39
	v_mov_b32_e32 v41, v38
	s_and_b64 vcc, exec, s[0:1]
	s_cbranch_vccz .LBB21_49
; %bb.34:                               ;   in Loop: Header=BB21_25 Depth=1
	v_pk_mul_f32 v[48:49], v[4:5], v[40:41]
	v_pk_fma_f32 v[50:51], v[2:3], v[38:39], v[48:49] neg_lo:[0,0,1] neg_hi:[0,0,1]
	v_pk_fma_f32 v[48:49], v[2:3], v[38:39], v[48:49]
	v_mov_b32_e32 v51, v49
	v_pk_add_f32 v[34:35], v[34:35], v[50:51] neg_lo:[0,1] neg_hi:[0,1]
	s_cbranch_execnz .LBB21_36
.LBB21_35:                              ;   in Loop: Header=BB21_25 Depth=1
	v_pk_mul_f32 v[34:35], v[40:41], s[12:13]
	v_pk_fma_f32 v[40:41], v[38:39], s[20:21], v[34:35] neg_lo:[0,0,1] neg_hi:[0,0,1]
	v_pk_fma_f32 v[34:35], v[38:39], s[20:21], v[34:35]
	v_mov_b32_e32 v41, v35
	v_pk_add_f32 v[34:35], v[26:27], v[40:41]
.LBB21_36:                              ;   in Loop: Header=BB21_25 Depth=1
	v_pk_add_f32 v[38:39], v[30:31], v[24:25] neg_lo:[0,1] neg_hi:[0,1]
	v_cndmask_b32_e64 v26, 0, 1, s[0:1]
	v_mov_b32_e32 v40, v39
	v_cmp_ne_u32_e64 s[10:11], 1, v26
	s_andn2_b64 vcc, exec, s[0:1]
	v_mov_b32_e32 v41, v38
	s_cbranch_vccnz .LBB21_50
; %bb.37:                               ;   in Loop: Header=BB21_25 Depth=1
	v_pk_mul_f32 v[26:27], v[4:5], v[40:41]
	v_pk_fma_f32 v[48:49], v[2:3], v[38:39], v[26:27] neg_lo:[0,0,1] neg_hi:[0,0,1]
	v_pk_fma_f32 v[26:27], v[2:3], v[38:39], v[26:27]
	v_mov_b32_e32 v49, v27
	v_pk_add_f32 v[26:27], v[30:31], v[48:49] neg_lo:[0,1] neg_hi:[0,1]
	s_cbranch_execnz .LBB21_39
.LBB21_38:                              ;   in Loop: Header=BB21_25 Depth=1
	v_pk_mul_f32 v[26:27], v[40:41], s[12:13]
	v_pk_fma_f32 v[30:31], v[38:39], s[20:21], v[26:27] neg_lo:[0,0,1] neg_hi:[0,0,1]
	v_pk_fma_f32 v[26:27], v[38:39], s[20:21], v[26:27]
	v_mov_b32_e32 v31, v27
	v_pk_add_f32 v[26:27], v[24:25], v[30:31]
.LBB21_39:                              ;   in Loop: Header=BB21_25 Depth=1
	v_pk_add_f32 v[30:31], v[32:33], v[22:23] neg_lo:[0,1] neg_hi:[0,1]
	v_mov_b32_e32 v38, v31
	s_and_b64 vcc, exec, s[10:11]
	v_mov_b32_e32 v39, v30
	s_cbranch_vccnz .LBB21_51
; %bb.40:                               ;   in Loop: Header=BB21_25 Depth=1
	v_pk_mul_f32 v[24:25], v[4:5], v[38:39]
	v_pk_fma_f32 v[40:41], v[2:3], v[30:31], v[24:25] neg_lo:[0,0,1] neg_hi:[0,0,1]
	v_pk_fma_f32 v[24:25], v[2:3], v[30:31], v[24:25]
	v_mov_b32_e32 v41, v25
	v_pk_add_f32 v[24:25], v[32:33], v[40:41] neg_lo:[0,1] neg_hi:[0,1]
	s_cbranch_execnz .LBB21_42
.LBB21_41:                              ;   in Loop: Header=BB21_25 Depth=1
	v_pk_mul_f32 v[24:25], v[38:39], s[12:13]
	v_pk_fma_f32 v[32:33], v[30:31], s[20:21], v[24:25] neg_lo:[0,0,1] neg_hi:[0,0,1]
	v_pk_fma_f32 v[24:25], v[30:31], s[20:21], v[24:25]
	v_mov_b32_e32 v33, v25
	v_pk_add_f32 v[24:25], v[22:23], v[32:33]
.LBB21_42:                              ;   in Loop: Header=BB21_25 Depth=1
	v_pk_add_f32 v[30:31], v[36:37], v[28:29] neg_lo:[0,1] neg_hi:[0,1]
	v_mov_b32_e32 v32, v31
	s_and_b64 vcc, exec, s[10:11]
	v_mov_b32_e32 v33, v30
	s_cbranch_vccnz .LBB21_52
; %bb.43:                               ;   in Loop: Header=BB21_25 Depth=1
	v_pk_mul_f32 v[22:23], v[4:5], v[32:33]
	v_pk_fma_f32 v[38:39], v[2:3], v[30:31], v[22:23] neg_lo:[0,0,1] neg_hi:[0,0,1]
	v_pk_fma_f32 v[22:23], v[2:3], v[30:31], v[22:23]
	v_mov_b32_e32 v39, v23
	v_pk_add_f32 v[22:23], v[36:37], v[38:39] neg_lo:[0,1] neg_hi:[0,1]
	s_cbranch_execnz .LBB21_45
.LBB21_44:                              ;   in Loop: Header=BB21_25 Depth=1
	v_pk_mul_f32 v[22:23], v[32:33], s[12:13]
	v_pk_fma_f32 v[32:33], v[30:31], s[20:21], v[22:23] neg_lo:[0,0,1] neg_hi:[0,0,1]
	v_pk_fma_f32 v[22:23], v[30:31], s[20:21], v[22:23]
	v_mov_b32_e32 v33, v23
	v_pk_add_f32 v[22:23], v[28:29], v[32:33]
.LBB21_45:                              ;   in Loop: Header=BB21_25 Depth=1
	s_and_saveexec_b64 s[10:11], s[2:3]
	s_xor_b64 s[2:3], exec, s[10:11]
	s_cbranch_execnz .LBB21_53
; %bb.46:                               ;   in Loop: Header=BB21_25 Depth=1
	s_or_b64 exec, exec, s[2:3]
	s_and_saveexec_b64 s[2:3], s[4:5]
	s_cbranch_execnz .LBB21_54
.LBB21_47:                              ;   in Loop: Header=BB21_25 Depth=1
	s_or_b64 exec, exec, s[2:3]
	s_and_saveexec_b64 s[2:3], s[6:7]
	s_cbranch_execnz .LBB21_55
.LBB21_48:                              ;   in Loop: Header=BB21_25 Depth=1
	s_or_b64 exec, exec, s[2:3]
	s_and_saveexec_b64 s[2:3], s[8:9]
	s_cbranch_execz .LBB21_24
	s_branch .LBB21_56
.LBB21_49:                              ;   in Loop: Header=BB21_25 Depth=1
                                        ; implicit-def: $vgpr34_vgpr35
	s_branch .LBB21_35
.LBB21_50:                              ;   in Loop: Header=BB21_25 Depth=1
                                        ; implicit-def: $vgpr26_vgpr27
	s_branch .LBB21_38
.LBB21_51:                              ;   in Loop: Header=BB21_25 Depth=1
                                        ; implicit-def: $vgpr24_vgpr25
	s_branch .LBB21_41
.LBB21_52:                              ;   in Loop: Header=BB21_25 Depth=1
                                        ; implicit-def: $vgpr22_vgpr23
	s_branch .LBB21_44
.LBB21_53:                              ;   in Loop: Header=BB21_25 Depth=1
	v_mov_b32_e32 v29, s15
	v_add_co_u32_e32 v28, vcc, s14, v6
	v_addc_co_u32_e32 v29, vcc, v1, v29, vcc
	global_store_dwordx2 v[28:29], v[34:35], off
	s_or_b64 exec, exec, s[2:3]
	s_and_saveexec_b64 s[2:3], s[4:5]
	s_cbranch_execz .LBB21_47
.LBB21_54:                              ;   in Loop: Header=BB21_25 Depth=1
	v_mov_b32_e32 v29, s15
	v_add_co_u32_e32 v28, vcc, s14, v18
	v_addc_co_u32_e32 v29, vcc, v17, v29, vcc
	global_store_dwordx2 v[28:29], v[26:27], off
	s_or_b64 exec, exec, s[2:3]
	s_and_saveexec_b64 s[2:3], s[6:7]
	s_cbranch_execz .LBB21_48
.LBB21_55:                              ;   in Loop: Header=BB21_25 Depth=1
	v_mov_b32_e32 v27, s15
	v_add_co_u32_e32 v26, vcc, s14, v14
	v_addc_co_u32_e32 v27, vcc, v13, v27, vcc
	global_store_dwordx2 v[26:27], v[24:25], off
	s_or_b64 exec, exec, s[2:3]
	s_and_saveexec_b64 s[2:3], s[8:9]
	s_cbranch_execz .LBB21_24
.LBB21_56:                              ;   in Loop: Header=BB21_25 Depth=1
	v_mov_b32_e32 v25, s15
	v_add_co_u32_e32 v24, vcc, s14, v10
	v_addc_co_u32_e32 v25, vcc, v9, v25, vcc
	global_store_dwordx2 v[24:25], v[22:23], off
	s_branch .LBB21_24
.LBB21_57:
	s_endpgm
	.section	.rodata,"a",@progbits
	.p2align	6, 0x0
	.amdhsa_kernel _ZN2at6native12_GLOBAL__N_125multi_tensor_apply_kernelINS1_18TensorListMetadataILi2EEENS1_22TernaryOpScalarFunctorIN3c107complexIfEELi2ELi2ELi0EEEJNS0_11LerpFunctorIS8_EES8_EEEvT_T0_DpT1_
		.amdhsa_group_segment_fixed_size 0
		.amdhsa_private_segment_fixed_size 0
		.amdhsa_kernarg_size 3416
		.amdhsa_user_sgpr_count 6
		.amdhsa_user_sgpr_private_segment_buffer 1
		.amdhsa_user_sgpr_dispatch_ptr 0
		.amdhsa_user_sgpr_queue_ptr 0
		.amdhsa_user_sgpr_kernarg_segment_ptr 1
		.amdhsa_user_sgpr_dispatch_id 0
		.amdhsa_user_sgpr_flat_scratch_init 0
		.amdhsa_user_sgpr_kernarg_preload_length 0
		.amdhsa_user_sgpr_kernarg_preload_offset 0
		.amdhsa_user_sgpr_private_segment_size 0
		.amdhsa_uses_dynamic_stack 0
		.amdhsa_system_sgpr_private_segment_wavefront_offset 0
		.amdhsa_system_sgpr_workgroup_id_x 1
		.amdhsa_system_sgpr_workgroup_id_y 0
		.amdhsa_system_sgpr_workgroup_id_z 0
		.amdhsa_system_sgpr_workgroup_info 0
		.amdhsa_system_vgpr_workitem_id 0
		.amdhsa_next_free_vgpr 52
		.amdhsa_next_free_sgpr 31
		.amdhsa_accum_offset 52
		.amdhsa_reserve_vcc 1
		.amdhsa_reserve_flat_scratch 0
		.amdhsa_float_round_mode_32 0
		.amdhsa_float_round_mode_16_64 0
		.amdhsa_float_denorm_mode_32 3
		.amdhsa_float_denorm_mode_16_64 3
		.amdhsa_dx10_clamp 1
		.amdhsa_ieee_mode 1
		.amdhsa_fp16_overflow 0
		.amdhsa_tg_split 0
		.amdhsa_exception_fp_ieee_invalid_op 0
		.amdhsa_exception_fp_denorm_src 0
		.amdhsa_exception_fp_ieee_div_zero 0
		.amdhsa_exception_fp_ieee_overflow 0
		.amdhsa_exception_fp_ieee_underflow 0
		.amdhsa_exception_fp_ieee_inexact 0
		.amdhsa_exception_int_div_zero 0
	.end_amdhsa_kernel
	.section	.text._ZN2at6native12_GLOBAL__N_125multi_tensor_apply_kernelINS1_18TensorListMetadataILi2EEENS1_22TernaryOpScalarFunctorIN3c107complexIfEELi2ELi2ELi0EEEJNS0_11LerpFunctorIS8_EES8_EEEvT_T0_DpT1_,"axG",@progbits,_ZN2at6native12_GLOBAL__N_125multi_tensor_apply_kernelINS1_18TensorListMetadataILi2EEENS1_22TernaryOpScalarFunctorIN3c107complexIfEELi2ELi2ELi0EEEJNS0_11LerpFunctorIS8_EES8_EEEvT_T0_DpT1_,comdat
.Lfunc_end21:
	.size	_ZN2at6native12_GLOBAL__N_125multi_tensor_apply_kernelINS1_18TensorListMetadataILi2EEENS1_22TernaryOpScalarFunctorIN3c107complexIfEELi2ELi2ELi0EEEJNS0_11LerpFunctorIS8_EES8_EEEvT_T0_DpT1_, .Lfunc_end21-_ZN2at6native12_GLOBAL__N_125multi_tensor_apply_kernelINS1_18TensorListMetadataILi2EEENS1_22TernaryOpScalarFunctorIN3c107complexIfEELi2ELi2ELi0EEEJNS0_11LerpFunctorIS8_EES8_EEEvT_T0_DpT1_
                                        ; -- End function
	.section	.AMDGPU.csdata,"",@progbits
; Kernel info:
; codeLenInByte = 2232
; NumSgprs: 35
; NumVgprs: 52
; NumAgprs: 0
; TotalNumVgprs: 52
; ScratchSize: 0
; MemoryBound: 1
; FloatMode: 240
; IeeeMode: 1
; LDSByteSize: 0 bytes/workgroup (compile time only)
; SGPRBlocks: 4
; VGPRBlocks: 6
; NumSGPRsForWavesPerEU: 35
; NumVGPRsForWavesPerEU: 52
; AccumOffset: 52
; Occupancy: 8
; WaveLimiterHint : 0
; COMPUTE_PGM_RSRC2:SCRATCH_EN: 0
; COMPUTE_PGM_RSRC2:USER_SGPR: 6
; COMPUTE_PGM_RSRC2:TRAP_HANDLER: 0
; COMPUTE_PGM_RSRC2:TGID_X_EN: 1
; COMPUTE_PGM_RSRC2:TGID_Y_EN: 0
; COMPUTE_PGM_RSRC2:TGID_Z_EN: 0
; COMPUTE_PGM_RSRC2:TIDIG_COMP_CNT: 0
; COMPUTE_PGM_RSRC3_GFX90A:ACCUM_OFFSET: 12
; COMPUTE_PGM_RSRC3_GFX90A:TG_SPLIT: 0
	.section	.text._ZN2at6native12_GLOBAL__N_125multi_tensor_apply_kernelINS1_18TensorListMetadataILi2EEENS1_22TernaryOpScalarFunctorIN3c104HalfELi2ELi2ELi0EEEJNS0_11LerpFunctorIfEEfEEEvT_T0_DpT1_,"axG",@progbits,_ZN2at6native12_GLOBAL__N_125multi_tensor_apply_kernelINS1_18TensorListMetadataILi2EEENS1_22TernaryOpScalarFunctorIN3c104HalfELi2ELi2ELi0EEEJNS0_11LerpFunctorIfEEfEEEvT_T0_DpT1_,comdat
	.globl	_ZN2at6native12_GLOBAL__N_125multi_tensor_apply_kernelINS1_18TensorListMetadataILi2EEENS1_22TernaryOpScalarFunctorIN3c104HalfELi2ELi2ELi0EEEJNS0_11LerpFunctorIfEEfEEEvT_T0_DpT1_ ; -- Begin function _ZN2at6native12_GLOBAL__N_125multi_tensor_apply_kernelINS1_18TensorListMetadataILi2EEENS1_22TernaryOpScalarFunctorIN3c104HalfELi2ELi2ELi0EEEJNS0_11LerpFunctorIfEEfEEEvT_T0_DpT1_
	.p2align	8
	.type	_ZN2at6native12_GLOBAL__N_125multi_tensor_apply_kernelINS1_18TensorListMetadataILi2EEENS1_22TernaryOpScalarFunctorIN3c104HalfELi2ELi2ELi0EEEJNS0_11LerpFunctorIfEEfEEEvT_T0_DpT1_,@function
_ZN2at6native12_GLOBAL__N_125multi_tensor_apply_kernelINS1_18TensorListMetadataILi2EEENS1_22TernaryOpScalarFunctorIN3c104HalfELi2ELi2ELi0EEEJNS0_11LerpFunctorIfEEfEEEvT_T0_DpT1_: ; @_ZN2at6native12_GLOBAL__N_125multi_tensor_apply_kernelINS1_18TensorListMetadataILi2EEENS1_22TernaryOpScalarFunctorIN3c104HalfELi2ELi2ELi0EEEJNS0_11LerpFunctorIfEEfEEEvT_T0_DpT1_
; %bb.0:
	v_mov_b32_e32 v1, s6
	global_load_ubyte v1, v1, s[4:5] offset:1536
	s_add_u32 s0, s4, s6
	s_mul_hi_u32 s1, s6, 3
	s_mul_i32 s6, s6, 3
	s_addc_u32 s2, s5, 0
	s_add_u32 s0, s0, s6
	s_addc_u32 s1, s2, s1
	s_load_dword s2, s[0:1], 0x740
	s_mov_b32 s1, 0
	s_mov_b32 s13, s1
	;; [unrolled: 1-line block ×3, first 2 shown]
	s_waitcnt lgkmcnt(0)
	s_ashr_i32 s3, s2, 31
	s_lshl_b64 s[10:11], s[2:3], 17
	s_waitcnt vmcnt(0)
	v_readfirstlane_b32 s0, v1
	s_lshl_b32 s0, s0, 3
	s_load_dwordx2 s[16:17], s[4:5], s0 offset:0x0
	s_load_dword s22, s[4:5], 0xc4c
	s_load_dwordx2 s[14:15], s[4:5], s0 offset:0x400
	s_load_dwordx2 s[8:9], s[4:5], s0 offset:0x200
	s_waitcnt lgkmcnt(0)
	s_add_u32 s23, s16, s10
	s_addc_u32 s24, s17, s11
	s_and_b32 s0, s23, 7
	s_add_u32 s25, s8, s10
	s_addc_u32 s26, s9, s11
	s_and_b32 s12, s14, 3
	s_and_b32 s6, s25, 7
	s_or_b64 s[12:13], s[0:1], s[12:13]
	s_or_b64 s[6:7], s[6:7], s[12:13]
	s_lshl_b64 s[2:3], s[2:3], 16
	s_sub_u32 s12, s14, s2
	s_subb_u32 s13, s15, s3
	s_cmp_eq_u64 s[6:7], 0
	s_mov_b64 s[2:3], -1
	s_cbranch_scc0 .LBB22_5
; %bb.1:
	v_mov_b32_e32 v3, 0
	v_lshlrev_b32_e32 v2, 2, v0
	v_cmp_gt_i64_e32 vcc, s[12:13], v[2:3]
	s_and_saveexec_b64 s[14:15], vcc
	s_cbranch_execz .LBB22_4
; %bb.2:
	s_load_dword s0, s[4:5], 0xc5c
	v_cmp_lt_f32_e64 vcc, |s22|, 0.5
	v_sub_f32_e64 v1, 1.0, s22
	v_lshlrev_b32_e32 v4, 3, v0
	s_mov_b64 s[18:19], 0
	s_waitcnt lgkmcnt(0)
	s_and_b32 s0, s0, 0xffff
	v_add_lshl_u32 v2, v0, s0, 2
	s_lshl_b32 s27, s0, 2
	s_lshl_b32 s28, s0, 3
	s_mov_b64 s[20:21], 0xffff
	v_mov_b32_e32 v5, s1
.LBB22_3:                               ; =>This Inner Loop Header: Depth=1
	v_mov_b32_e32 v7, s24
	v_add_co_u32_e64 v8, s[2:3], s23, v4
	v_mov_b32_e32 v10, s26
	v_add_co_u32_e64 v6, s[0:1], s25, v4
	v_addc_co_u32_e64 v9, s[2:3], 0, v7, s[2:3]
	v_addc_co_u32_e64 v7, s[0:1], 0, v10, s[0:1]
	global_load_dwordx2 v[10:11], v[8:9], off
	global_load_dwordx2 v[12:13], v[6:7], off
	v_cmp_le_i64_e64 s[0:1], s[12:13], v[2:3]
	v_cmp_lt_u64_e64 s[2:3], s[20:21], v[2:3]
	s_or_b64 s[0:1], s[0:1], s[2:3]
	s_add_u32 s23, s23, s28
	s_addc_u32 s24, s24, 0
	s_add_u32 s25, s25, s28
	s_addc_u32 s26, s26, 0
	v_add_co_u32_e64 v2, s[6:7], s27, v2
	s_and_b64 s[0:1], exec, s[0:1]
	v_addc_co_u32_e64 v3, s[6:7], v3, v5, s[6:7]
	s_or_b64 s[18:19], s[0:1], s[18:19]
	s_waitcnt vmcnt(1)
	v_cvt_f32_f16_e32 v6, v10
	s_waitcnt vmcnt(0)
	v_cvt_f32_f16_e32 v7, v12
	v_cvt_f32_f16_sdwa v14, v10 dst_sel:DWORD dst_unused:UNUSED_PAD src0_sel:WORD_1
	v_cvt_f32_f16_sdwa v15, v12 dst_sel:DWORD dst_unused:UNUSED_PAD src0_sel:WORD_1
	v_cvt_f32_f16_e32 v16, v11
	v_cvt_f32_f16_e32 v17, v13
	v_cvt_f32_f16_sdwa v18, v11 dst_sel:DWORD dst_unused:UNUSED_PAD src0_sel:WORD_1
	v_cvt_f32_f16_sdwa v19, v13 dst_sel:DWORD dst_unused:UNUSED_PAD src0_sel:WORD_1
	v_sub_f32_e32 v6, v7, v6
	v_sub_f32_e32 v7, v15, v14
	v_sub_f32_e32 v14, v17, v16
	v_sub_f32_e32 v15, v19, v18
	v_fma_mix_f32 v16, v6, s22, v10 op_sel_hi:[0,0,1]
	v_fma_mix_f32 v6, -v1, v6, v12 op_sel_hi:[0,0,1]
	v_fma_mix_f32 v10, v7, s22, v10 op_sel:[0,0,1] op_sel_hi:[0,0,1]
	v_fma_mix_f32 v7, -v1, v7, v12 op_sel:[0,0,1] op_sel_hi:[0,0,1]
	v_fma_mix_f32 v12, v14, s22, v11 op_sel_hi:[0,0,1]
	v_fma_mix_f32 v14, -v1, v14, v13 op_sel_hi:[0,0,1]
	v_fma_mix_f32 v11, v15, s22, v11 op_sel:[0,0,1] op_sel_hi:[0,0,1]
	v_fma_mix_f32 v13, -v1, v15, v13 op_sel:[0,0,1] op_sel_hi:[0,0,1]
	v_cndmask_b32_e32 v6, v6, v16, vcc
	v_cndmask_b32_e32 v7, v7, v10, vcc
	;; [unrolled: 1-line block ×4, first 2 shown]
	v_cvt_f16_f32_e32 v6, v6
	v_cvt_f16_f32_e32 v10, v10
	;; [unrolled: 1-line block ×4, first 2 shown]
	v_pack_b32_f16 v7, v10, v11
	v_pack_b32_f16 v6, v6, v12
	global_store_dwordx2 v[8:9], v[6:7], off
	s_andn2_b64 exec, exec, s[18:19]
	s_cbranch_execnz .LBB22_3
.LBB22_4:
	s_or_b64 exec, exec, s[14:15]
	s_mov_b64 s[2:3], 0
.LBB22_5:
	s_andn2_b64 vcc, exec, s[2:3]
	s_cbranch_vccnz .LBB22_25
; %bb.6:
	v_cmp_lt_i64_e64 s[0:1], s[12:13], 1
	s_and_b64 vcc, exec, s[0:1]
	s_cbranch_vccnz .LBB22_25
; %bb.7:
	s_load_dword s0, s[4:5], 0xc5c
	v_mov_b32_e32 v2, 0x10000
	v_mov_b32_e32 v3, 0
	v_cmp_lt_u64_e32 vcc, s[12:13], v[2:3]
	v_lshlrev_b32_e32 v10, 1, v0
	s_waitcnt lgkmcnt(0)
	s_and_b32 s4, s0, 0xffff
	s_and_b64 s[0:1], vcc, exec
	v_mov_b32_e32 v13, s17
	v_add_co_u32_e32 v2, vcc, s16, v10
	v_addc_co_u32_e32 v1, vcc, 0, v13, vcc
	v_mov_b32_e32 v11, 0
	v_mov_b32_e32 v15, s9
	v_add_co_u32_e32 v4, vcc, s8, v10
	v_addc_co_u32_e32 v3, vcc, 0, v15, vcc
	v_mad_u64_u32 v[8:9], s[2:3], s4, 6, v[10:11]
	v_add_co_u32_e32 v6, vcc, s16, v8
	v_addc_co_u32_e32 v5, vcc, v13, v9, vcc
	v_add_co_u32_e32 v8, vcc, s8, v8
	s_mul_i32 s6, s4, 3
	v_addc_co_u32_e32 v7, vcc, v15, v9, vcc
	s_cselect_b32 s15, s13, 0
	s_cselect_b32 s14, s12, 0x10000
	s_lshl_b32 s21, s4, 2
	v_add_co_u32_e32 v18, vcc, s6, v0
	v_addc_co_u32_e64 v19, s[2:3], 0, 0, vcc
	v_add_co_u32_e32 v11, vcc, s21, v10
	v_addc_co_u32_e64 v14, s[2:3], 0, 0, vcc
	v_add_co_u32_e32 v10, vcc, s16, v11
	v_addc_co_u32_e32 v9, vcc, v13, v14, vcc
	v_add_co_u32_e32 v12, vcc, s8, v11
	s_lshl_b32 s5, s4, 1
	v_addc_co_u32_e32 v11, vcc, v15, v14, vcc
	v_add_co_u32_e32 v20, vcc, s5, v0
	v_addc_co_u32_e64 v21, s[2:3], 0, 0, vcc
	v_add_co_u32_e32 v22, vcc, s4, v0
	v_lshlrev_b32_e32 v16, 1, v22
	v_addc_co_u32_e64 v23, s[2:3], 0, 0, vcc
	v_add_co_u32_e32 v14, vcc, s16, v16
	v_addc_co_u32_e32 v13, vcc, 0, v13, vcc
	v_add_co_u32_e32 v16, vcc, s8, v16
	s_mov_b32 s20, 0
	v_cmp_lt_f32_e64 s[0:1], |s22|, 0.5
	v_sub_f32_e64 v17, 1.0, s22
	s_lshl_b32 s23, s4, 3
	v_addc_co_u32_e32 v15, vcc, 0, v15, vcc
	s_mov_b64 s[16:17], 0
	s_branch .LBB22_9
.LBB22_8:                               ;   in Loop: Header=BB22_9 Depth=1
	s_or_b64 exec, exec, s[2:3]
	s_add_u32 s16, s16, s21
	s_addc_u32 s17, s17, 0
	s_waitcnt vmcnt(1)
	v_pk_mov_b32 v[24:25], s[12:13], s[12:13] op_sel:[0,1]
	v_cmp_ge_i64_e32 vcc, s[16:17], v[24:25]
	v_mov_b32_e32 v24, 0xffff
	v_mov_b32_e32 v25, 0
	v_cmp_gt_u64_e64 s[2:3], s[16:17], v[24:25]
	s_or_b64 s[2:3], vcc, s[2:3]
	v_mov_b32_e32 v24, s20
	v_add_co_u32_e32 v2, vcc, s23, v2
	v_addc_co_u32_e32 v1, vcc, v1, v24, vcc
	v_add_co_u32_e32 v4, vcc, s23, v4
	v_addc_co_u32_e32 v3, vcc, v3, v24, vcc
	;; [unrolled: 2-line block ×8, first 2 shown]
	s_and_b64 vcc, exec, s[2:3]
	s_cbranch_vccnz .LBB22_25
.LBB22_9:                               ; =>This Inner Loop Header: Depth=1
	v_mov_b32_e32 v25, s17
	v_add_co_u32_e32 v24, vcc, s16, v0
	v_addc_co_u32_e32 v25, vcc, 0, v25, vcc
	v_cmp_gt_u64_e32 vcc, s[14:15], v[24:25]
	v_mov_b32_e32 v25, 0
	s_waitcnt vmcnt(0)
	v_mov_b32_e32 v26, 0
	s_and_saveexec_b64 s[4:5], vcc
	s_cbranch_execz .LBB22_11
; %bb.10:                               ;   in Loop: Header=BB22_9 Depth=1
	v_mov_b32_e32 v24, s11
	v_add_co_u32_e64 v28, s[2:3], s10, v4
	v_addc_co_u32_e64 v29, s[2:3], v3, v24, s[2:3]
	v_add_co_u32_e64 v30, s[2:3], s10, v2
	v_addc_co_u32_e64 v31, s[2:3], v1, v24, s[2:3]
	global_load_ushort v25, v[30:31], off
	global_load_ushort v26, v[28:29], off
.LBB22_11:                              ;   in Loop: Header=BB22_9 Depth=1
	s_or_b64 exec, exec, s[4:5]
	v_mov_b32_e32 v24, s17
	v_add_co_u32_e64 v28, s[2:3], s16, v22
	v_addc_co_u32_e64 v29, s[2:3], v23, v24, s[2:3]
	v_cmp_gt_u64_e64 s[2:3], s[14:15], v[28:29]
	v_mov_b32_e32 v24, 0
	v_mov_b32_e32 v27, 0
	;; [unrolled: 1-line block ×3, first 2 shown]
	s_and_saveexec_b64 s[6:7], s[2:3]
	s_cbranch_execz .LBB22_13
; %bb.12:                               ;   in Loop: Header=BB22_9 Depth=1
	v_mov_b32_e32 v27, s11
	v_add_co_u32_e64 v30, s[4:5], s10, v16
	v_addc_co_u32_e64 v31, s[4:5], v15, v27, s[4:5]
	v_add_co_u32_e64 v32, s[4:5], s10, v14
	v_addc_co_u32_e64 v33, s[4:5], v13, v27, s[4:5]
	global_load_ushort v27, v[32:33], off
	global_load_ushort v28, v[30:31], off
.LBB22_13:                              ;   in Loop: Header=BB22_9 Depth=1
	s_or_b64 exec, exec, s[6:7]
	v_mov_b32_e32 v29, s17
	v_add_co_u32_e64 v30, s[4:5], s16, v20
	v_addc_co_u32_e64 v31, s[4:5], v21, v29, s[4:5]
	v_cmp_gt_u64_e64 s[4:5], s[14:15], v[30:31]
	v_mov_b32_e32 v29, 0
	s_and_saveexec_b64 s[8:9], s[4:5]
	s_cbranch_execz .LBB22_15
; %bb.14:                               ;   in Loop: Header=BB22_9 Depth=1
	v_mov_b32_e32 v24, s11
	v_add_co_u32_e64 v30, s[6:7], s10, v12
	v_addc_co_u32_e64 v31, s[6:7], v11, v24, s[6:7]
	v_add_co_u32_e64 v32, s[6:7], s10, v10
	v_addc_co_u32_e64 v33, s[6:7], v9, v24, s[6:7]
	global_load_ushort v24, v[32:33], off
	global_load_ushort v29, v[30:31], off
.LBB22_15:                              ;   in Loop: Header=BB22_9 Depth=1
	s_or_b64 exec, exec, s[8:9]
	v_mov_b32_e32 v31, s17
	v_add_co_u32_e64 v30, s[6:7], s16, v18
	v_addc_co_u32_e64 v31, s[6:7], v19, v31, s[6:7]
	v_cmp_gt_u64_e64 s[6:7], s[14:15], v[30:31]
	v_mov_b32_e32 v30, 0
	v_mov_b32_e32 v31, 0
	s_and_saveexec_b64 s[18:19], s[6:7]
	s_cbranch_execnz .LBB22_20
; %bb.16:                               ;   in Loop: Header=BB22_9 Depth=1
	s_or_b64 exec, exec, s[18:19]
	s_and_saveexec_b64 s[8:9], vcc
	s_cbranch_execnz .LBB22_21
.LBB22_17:                              ;   in Loop: Header=BB22_9 Depth=1
	s_or_b64 exec, exec, s[8:9]
	s_and_saveexec_b64 s[8:9], s[2:3]
	s_cbranch_execnz .LBB22_22
.LBB22_18:                              ;   in Loop: Header=BB22_9 Depth=1
	s_or_b64 exec, exec, s[8:9]
	s_and_saveexec_b64 s[2:3], s[4:5]
	s_cbranch_execnz .LBB22_23
.LBB22_19:                              ;   in Loop: Header=BB22_9 Depth=1
	s_or_b64 exec, exec, s[2:3]
	s_and_saveexec_b64 s[2:3], s[6:7]
	s_cbranch_execz .LBB22_8
	s_branch .LBB22_24
.LBB22_20:                              ;   in Loop: Header=BB22_9 Depth=1
	v_mov_b32_e32 v30, s11
	v_add_co_u32_e64 v32, s[8:9], s10, v8
	v_addc_co_u32_e64 v33, s[8:9], v7, v30, s[8:9]
	v_add_co_u32_e64 v34, s[8:9], s10, v6
	v_addc_co_u32_e64 v35, s[8:9], v5, v30, s[8:9]
	global_load_ushort v30, v[34:35], off
	global_load_ushort v31, v[32:33], off
	s_or_b64 exec, exec, s[18:19]
	s_and_saveexec_b64 s[8:9], vcc
	s_cbranch_execz .LBB22_17
.LBB22_21:                              ;   in Loop: Header=BB22_9 Depth=1
	s_waitcnt vmcnt(0)
	v_cvt_f32_f16_e32 v32, v26
	v_cvt_f32_f16_e32 v33, v25
	v_mov_b32_e32 v34, s11
	v_sub_f32_e32 v32, v32, v33
	v_fma_mix_f32 v25, v32, s22, v25 op_sel_hi:[0,0,1]
	v_fma_mix_f32 v26, -v17, v32, v26 op_sel_hi:[0,0,1]
	v_cndmask_b32_e64 v25, v26, v25, s[0:1]
	v_cvt_f16_f32_e32 v25, v25
	v_add_co_u32_e32 v32, vcc, s10, v2
	v_addc_co_u32_e32 v33, vcc, v1, v34, vcc
	global_store_short v[32:33], v25, off
	s_or_b64 exec, exec, s[8:9]
	s_and_saveexec_b64 s[8:9], s[2:3]
	s_cbranch_execz .LBB22_18
.LBB22_22:                              ;   in Loop: Header=BB22_9 Depth=1
	s_waitcnt vmcnt(1)
	v_cvt_f32_f16_e32 v25, v27
	s_waitcnt vmcnt(0)
	v_cvt_f32_f16_e32 v26, v28
	v_mov_b32_e32 v32, s11
	v_sub_f32_e32 v25, v26, v25
	v_fma_mix_f32 v26, v25, s22, v27 op_sel_hi:[0,0,1]
	v_fma_mix_f32 v25, -v17, v25, v28 op_sel_hi:[0,0,1]
	v_cndmask_b32_e64 v25, v25, v26, s[0:1]
	v_cvt_f16_f32_e32 v25, v25
	v_add_co_u32_e32 v26, vcc, s10, v14
	v_addc_co_u32_e32 v27, vcc, v13, v32, vcc
	global_store_short v[26:27], v25, off
	s_or_b64 exec, exec, s[8:9]
	s_and_saveexec_b64 s[2:3], s[4:5]
	s_cbranch_execz .LBB22_19
.LBB22_23:                              ;   in Loop: Header=BB22_9 Depth=1
	s_waitcnt vmcnt(1)
	v_cvt_f32_f16_e32 v25, v24
	s_waitcnt vmcnt(0)
	v_cvt_f32_f16_e32 v26, v29
	v_mov_b32_e32 v27, s11
	v_sub_f32_e32 v25, v26, v25
	v_fma_mix_f32 v24, v25, s22, v24 op_sel_hi:[0,0,1]
	v_fma_mix_f32 v25, -v17, v25, v29 op_sel_hi:[0,0,1]
	v_cndmask_b32_e64 v24, v25, v24, s[0:1]
	v_cvt_f16_f32_e32 v26, v24
	v_add_co_u32_e32 v24, vcc, s10, v10
	v_addc_co_u32_e32 v25, vcc, v9, v27, vcc
	global_store_short v[24:25], v26, off
	s_or_b64 exec, exec, s[2:3]
	s_and_saveexec_b64 s[2:3], s[6:7]
	s_cbranch_execz .LBB22_8
.LBB22_24:                              ;   in Loop: Header=BB22_9 Depth=1
	s_waitcnt vmcnt(1)
	v_cvt_f32_f16_e32 v24, v30
	s_waitcnt vmcnt(0)
	v_cvt_f32_f16_e32 v25, v31
	v_mov_b32_e32 v26, s11
	v_sub_f32_e32 v24, v25, v24
	v_fma_mix_f32 v25, v24, s22, v30 op_sel_hi:[0,0,1]
	v_fma_mix_f32 v24, -v17, v24, v31 op_sel_hi:[0,0,1]
	v_cndmask_b32_e64 v24, v24, v25, s[0:1]
	v_cvt_f16_f32_e32 v27, v24
	v_add_co_u32_e32 v24, vcc, s10, v6
	v_addc_co_u32_e32 v25, vcc, v5, v26, vcc
	global_store_short v[24:25], v27, off
	s_branch .LBB22_8
.LBB22_25:
	s_endpgm
	.section	.rodata,"a",@progbits
	.p2align	6, 0x0
	.amdhsa_kernel _ZN2at6native12_GLOBAL__N_125multi_tensor_apply_kernelINS1_18TensorListMetadataILi2EEENS1_22TernaryOpScalarFunctorIN3c104HalfELi2ELi2ELi0EEEJNS0_11LerpFunctorIfEEfEEEvT_T0_DpT1_
		.amdhsa_group_segment_fixed_size 0
		.amdhsa_private_segment_fixed_size 0
		.amdhsa_kernarg_size 3408
		.amdhsa_user_sgpr_count 6
		.amdhsa_user_sgpr_private_segment_buffer 1
		.amdhsa_user_sgpr_dispatch_ptr 0
		.amdhsa_user_sgpr_queue_ptr 0
		.amdhsa_user_sgpr_kernarg_segment_ptr 1
		.amdhsa_user_sgpr_dispatch_id 0
		.amdhsa_user_sgpr_flat_scratch_init 0
		.amdhsa_user_sgpr_kernarg_preload_length 0
		.amdhsa_user_sgpr_kernarg_preload_offset 0
		.amdhsa_user_sgpr_private_segment_size 0
		.amdhsa_uses_dynamic_stack 0
		.amdhsa_system_sgpr_private_segment_wavefront_offset 0
		.amdhsa_system_sgpr_workgroup_id_x 1
		.amdhsa_system_sgpr_workgroup_id_y 0
		.amdhsa_system_sgpr_workgroup_id_z 0
		.amdhsa_system_sgpr_workgroup_info 0
		.amdhsa_system_vgpr_workitem_id 0
		.amdhsa_next_free_vgpr 36
		.amdhsa_next_free_sgpr 29
		.amdhsa_accum_offset 36
		.amdhsa_reserve_vcc 1
		.amdhsa_reserve_flat_scratch 0
		.amdhsa_float_round_mode_32 0
		.amdhsa_float_round_mode_16_64 0
		.amdhsa_float_denorm_mode_32 3
		.amdhsa_float_denorm_mode_16_64 3
		.amdhsa_dx10_clamp 1
		.amdhsa_ieee_mode 1
		.amdhsa_fp16_overflow 0
		.amdhsa_tg_split 0
		.amdhsa_exception_fp_ieee_invalid_op 0
		.amdhsa_exception_fp_denorm_src 0
		.amdhsa_exception_fp_ieee_div_zero 0
		.amdhsa_exception_fp_ieee_overflow 0
		.amdhsa_exception_fp_ieee_underflow 0
		.amdhsa_exception_fp_ieee_inexact 0
		.amdhsa_exception_int_div_zero 0
	.end_amdhsa_kernel
	.section	.text._ZN2at6native12_GLOBAL__N_125multi_tensor_apply_kernelINS1_18TensorListMetadataILi2EEENS1_22TernaryOpScalarFunctorIN3c104HalfELi2ELi2ELi0EEEJNS0_11LerpFunctorIfEEfEEEvT_T0_DpT1_,"axG",@progbits,_ZN2at6native12_GLOBAL__N_125multi_tensor_apply_kernelINS1_18TensorListMetadataILi2EEENS1_22TernaryOpScalarFunctorIN3c104HalfELi2ELi2ELi0EEEJNS0_11LerpFunctorIfEEfEEEvT_T0_DpT1_,comdat
.Lfunc_end22:
	.size	_ZN2at6native12_GLOBAL__N_125multi_tensor_apply_kernelINS1_18TensorListMetadataILi2EEENS1_22TernaryOpScalarFunctorIN3c104HalfELi2ELi2ELi0EEEJNS0_11LerpFunctorIfEEfEEEvT_T0_DpT1_, .Lfunc_end22-_ZN2at6native12_GLOBAL__N_125multi_tensor_apply_kernelINS1_18TensorListMetadataILi2EEENS1_22TernaryOpScalarFunctorIN3c104HalfELi2ELi2ELi0EEEJNS0_11LerpFunctorIfEEfEEEvT_T0_DpT1_
                                        ; -- End function
	.section	.AMDGPU.csdata,"",@progbits
; Kernel info:
; codeLenInByte = 1744
; NumSgprs: 33
; NumVgprs: 36
; NumAgprs: 0
; TotalNumVgprs: 36
; ScratchSize: 0
; MemoryBound: 0
; FloatMode: 240
; IeeeMode: 1
; LDSByteSize: 0 bytes/workgroup (compile time only)
; SGPRBlocks: 4
; VGPRBlocks: 4
; NumSGPRsForWavesPerEU: 33
; NumVGPRsForWavesPerEU: 36
; AccumOffset: 36
; Occupancy: 8
; WaveLimiterHint : 0
; COMPUTE_PGM_RSRC2:SCRATCH_EN: 0
; COMPUTE_PGM_RSRC2:USER_SGPR: 6
; COMPUTE_PGM_RSRC2:TRAP_HANDLER: 0
; COMPUTE_PGM_RSRC2:TGID_X_EN: 1
; COMPUTE_PGM_RSRC2:TGID_Y_EN: 0
; COMPUTE_PGM_RSRC2:TGID_Z_EN: 0
; COMPUTE_PGM_RSRC2:TIDIG_COMP_CNT: 0
; COMPUTE_PGM_RSRC3_GFX90A:ACCUM_OFFSET: 8
; COMPUTE_PGM_RSRC3_GFX90A:TG_SPLIT: 0
	.section	.text._ZN2at6native12_GLOBAL__N_125multi_tensor_apply_kernelINS1_18TensorListMetadataILi2EEENS1_22TernaryOpScalarFunctorIN3c108BFloat16ELi2ELi2ELi0EEEJNS0_11LerpFunctorIfEEfEEEvT_T0_DpT1_,"axG",@progbits,_ZN2at6native12_GLOBAL__N_125multi_tensor_apply_kernelINS1_18TensorListMetadataILi2EEENS1_22TernaryOpScalarFunctorIN3c108BFloat16ELi2ELi2ELi0EEEJNS0_11LerpFunctorIfEEfEEEvT_T0_DpT1_,comdat
	.globl	_ZN2at6native12_GLOBAL__N_125multi_tensor_apply_kernelINS1_18TensorListMetadataILi2EEENS1_22TernaryOpScalarFunctorIN3c108BFloat16ELi2ELi2ELi0EEEJNS0_11LerpFunctorIfEEfEEEvT_T0_DpT1_ ; -- Begin function _ZN2at6native12_GLOBAL__N_125multi_tensor_apply_kernelINS1_18TensorListMetadataILi2EEENS1_22TernaryOpScalarFunctorIN3c108BFloat16ELi2ELi2ELi0EEEJNS0_11LerpFunctorIfEEfEEEvT_T0_DpT1_
	.p2align	8
	.type	_ZN2at6native12_GLOBAL__N_125multi_tensor_apply_kernelINS1_18TensorListMetadataILi2EEENS1_22TernaryOpScalarFunctorIN3c108BFloat16ELi2ELi2ELi0EEEJNS0_11LerpFunctorIfEEfEEEvT_T0_DpT1_,@function
_ZN2at6native12_GLOBAL__N_125multi_tensor_apply_kernelINS1_18TensorListMetadataILi2EEENS1_22TernaryOpScalarFunctorIN3c108BFloat16ELi2ELi2ELi0EEEJNS0_11LerpFunctorIfEEfEEEvT_T0_DpT1_: ; @_ZN2at6native12_GLOBAL__N_125multi_tensor_apply_kernelINS1_18TensorListMetadataILi2EEENS1_22TernaryOpScalarFunctorIN3c108BFloat16ELi2ELi2ELi0EEEJNS0_11LerpFunctorIfEEfEEEvT_T0_DpT1_
; %bb.0:
	v_mov_b32_e32 v1, s6
	global_load_ubyte v1, v1, s[4:5] offset:1536
	s_add_u32 s0, s4, s6
	s_mul_hi_u32 s2, s6, 3
	s_mul_i32 s6, s6, 3
	s_addc_u32 s7, s5, 0
	s_add_u32 s6, s0, s6
	s_addc_u32 s7, s7, s2
	s_load_dword s6, s[6:7], 0x740
	s_mov_b32 s3, 0
	s_mov_b32 s15, s3
	;; [unrolled: 1-line block ×3, first 2 shown]
	s_waitcnt lgkmcnt(0)
	s_ashr_i32 s7, s6, 31
	s_lshl_b64 s[10:11], s[6:7], 17
	s_lshl_b64 s[6:7], s[6:7], 16
	s_waitcnt vmcnt(0)
	v_readfirstlane_b32 s0, v1
	s_lshl_b32 s0, s0, 3
	s_load_dwordx2 s[16:17], s[4:5], s0 offset:0x0
	s_load_dword s22, s[4:5], 0xc4c
	s_load_dwordx2 s[12:13], s[4:5], s0 offset:0x400
	s_load_dwordx2 s[8:9], s[4:5], s0 offset:0x200
	s_waitcnt lgkmcnt(0)
	s_and_b32 s2, s16, 7
	s_and_b32 s14, s12, 3
	;; [unrolled: 1-line block ×3, first 2 shown]
	s_or_b64 s[14:15], s[2:3], s[14:15]
	s_or_b64 s[0:1], s[0:1], s[14:15]
	s_sub_u32 s12, s12, s6
	s_subb_u32 s13, s13, s7
	s_cmp_eq_u64 s[0:1], 0
	s_mov_b64 s[0:1], -1
	s_cbranch_scc0 .LBB23_5
; %bb.1:
	v_mov_b32_e32 v3, 0
	v_lshlrev_b32_e32 v2, 2, v0
	v_cmp_gt_i64_e32 vcc, s[12:13], v[2:3]
	s_and_saveexec_b64 s[14:15], vcc
	s_cbranch_execz .LBB23_4
; %bb.2:
	s_load_dword s0, s[4:5], 0xc5c
	v_lshlrev_b32_e32 v1, 3, v0
	v_mov_b32_e32 v2, s11
	v_cmp_lt_f32_e64 vcc, |s22|, 0.5
	v_sub_f32_e64 v5, 1.0, s22
	s_waitcnt lgkmcnt(0)
	s_and_b32 s2, s0, 0xffff
	v_add_co_u32_e64 v4, s[0:1], s10, v1
	v_addc_co_u32_e64 v1, s[0:1], 0, v2, s[0:1]
	s_lshl_b32 s23, s2, 3
	v_add_lshl_u32 v2, v0, s2, 2
	s_lshl_b32 s24, s2, 2
	s_mov_b64 s[18:19], 0
	v_mov_b32_e32 v6, s17
	v_mov_b32_e32 v7, s9
	s_movk_i32 s25, 0x7fff
	v_mov_b32_e32 v8, 0x7fc0
	v_mov_b32_e32 v9, 0x7fc00000
	s_mov_b64 s[20:21], 0xffff
	v_mov_b32_e32 v10, s3
	v_mov_b32_e32 v11, s3
.LBB23_3:                               ; =>This Inner Loop Header: Depth=1
	v_add_co_u32_e64 v12, s[0:1], s16, v4
	v_addc_co_u32_e64 v13, s[0:1], v6, v1, s[0:1]
	v_add_co_u32_e64 v14, s[0:1], s8, v4
	v_addc_co_u32_e64 v15, s[0:1], v7, v1, s[0:1]
	global_load_dwordx2 v[16:17], v[12:13], off
	global_load_dwordx2 v[18:19], v[14:15], off
	v_add_co_u32_e64 v4, s[6:7], s23, v4
	v_cmp_le_i64_e64 s[0:1], s[12:13], v[2:3]
	v_cmp_lt_u64_e64 s[2:3], s[20:21], v[2:3]
	v_addc_co_u32_e64 v1, s[6:7], v1, v10, s[6:7]
	v_add_co_u32_e64 v2, s[6:7], s24, v2
	s_or_b64 s[0:1], s[0:1], s[2:3]
	v_addc_co_u32_e64 v3, s[6:7], v3, v11, s[6:7]
	s_and_b64 s[0:1], exec, s[0:1]
	s_or_b64 s[18:19], s[0:1], s[18:19]
	s_waitcnt vmcnt(1)
	v_lshlrev_b32_e32 v14, 16, v16
	s_waitcnt vmcnt(0)
	v_lshlrev_b32_e32 v15, 16, v18
	v_and_b32_e32 v20, 0xffff0000, v16
	v_and_b32_e32 v21, 0xffff0000, v18
	v_alignbit_b32 v16, v17, v16, 16
	v_alignbit_b32 v18, v19, v18, 16
	v_and_b32_e32 v17, 0xffff0000, v17
	v_and_b32_e32 v19, 0xffff0000, v19
	v_sub_f32_e32 v22, v15, v14
	v_sub_f32_e32 v23, v21, v20
	v_and_b32_e32 v16, 0xffff0000, v16
	v_and_b32_e32 v18, 0xffff0000, v18
	v_sub_f32_e32 v24, v19, v17
	v_fmac_f32_e32 v14, s22, v22
	v_fma_f32 v15, -v5, v22, v15
	v_fmac_f32_e32 v20, s22, v23
	v_fma_f32 v21, -v5, v23, v21
	v_sub_f32_e32 v22, v18, v16
	v_fmac_f32_e32 v17, s22, v24
	v_fma_f32 v19, -v5, v24, v19
	v_cndmask_b32_e32 v14, v15, v14, vcc
	v_cndmask_b32_e32 v15, v21, v20, vcc
	v_fmac_f32_e32 v16, s22, v22
	v_fma_f32 v18, -v5, v22, v18
	v_cndmask_b32_e32 v17, v19, v17, vcc
	v_bfe_u32 v19, v14, 16, 1
	v_bfe_u32 v20, v15, 16, 1
	v_cndmask_b32_e32 v16, v18, v16, vcc
	v_bfe_u32 v18, v17, 16, 1
	v_add3_u32 v19, v14, v19, s25
	v_add3_u32 v20, v15, v20, s25
	v_bfe_u32 v21, v16, 16, 1
	v_add3_u32 v18, v17, v18, s25
	v_lshrrev_b32_e32 v19, 16, v19
	v_and_b32_e32 v20, 0xffff0000, v20
	v_cmp_o_f32_e64 s[0:1], v15, v15
	v_add3_u32 v15, v16, v21, s25
	v_cmp_o_f32_e64 s[6:7], v14, v14
	v_and_b32_e32 v18, 0xffff0000, v18
	v_cmp_o_f32_e64 s[2:3], v17, v17
	v_cndmask_b32_e64 v14, v8, v19, s[6:7]
	v_cndmask_b32_e64 v17, v9, v20, s[0:1]
	v_lshrrev_b32_e32 v15, 16, v15
	v_cmp_o_f32_e64 s[0:1], v16, v16
	v_cndmask_b32_e64 v18, v9, v18, s[2:3]
	v_or_b32_e32 v14, v14, v17
	v_cndmask_b32_e64 v15, v8, v15, s[0:1]
	v_or3_b32 v15, 0, v15, v18
	v_or3_b32 v14, v14, 0, 0
	global_store_dwordx2 v[12:13], v[14:15], off
	s_andn2_b64 exec, exec, s[18:19]
	s_cbranch_execnz .LBB23_3
.LBB23_4:
	s_or_b64 exec, exec, s[14:15]
	s_mov_b64 s[0:1], 0
.LBB23_5:
	s_andn2_b64 vcc, exec, s[0:1]
	s_cbranch_vccnz .LBB23_25
; %bb.6:
	v_cmp_lt_i64_e64 s[0:1], s[12:13], 1
	s_and_b64 vcc, exec, s[0:1]
	s_cbranch_vccnz .LBB23_25
; %bb.7:
	s_load_dword s0, s[4:5], 0xc5c
	v_mov_b32_e32 v2, 0x10000
	v_mov_b32_e32 v3, 0
	v_cmp_lt_u64_e32 vcc, s[12:13], v[2:3]
	v_lshlrev_b32_e32 v10, 1, v0
	s_waitcnt lgkmcnt(0)
	s_and_b32 s4, s0, 0xffff
	s_and_b64 s[0:1], vcc, exec
	v_mov_b32_e32 v13, s17
	v_add_co_u32_e32 v2, vcc, s16, v10
	v_addc_co_u32_e32 v1, vcc, 0, v13, vcc
	v_mov_b32_e32 v11, 0
	v_mov_b32_e32 v15, s9
	v_add_co_u32_e32 v4, vcc, s8, v10
	v_addc_co_u32_e32 v3, vcc, 0, v15, vcc
	v_mad_u64_u32 v[8:9], s[2:3], s4, 6, v[10:11]
	v_add_co_u32_e32 v6, vcc, s16, v8
	v_addc_co_u32_e32 v5, vcc, v13, v9, vcc
	v_add_co_u32_e32 v8, vcc, s8, v8
	s_mul_i32 s6, s4, 3
	v_addc_co_u32_e32 v7, vcc, v15, v9, vcc
	s_cselect_b32 s15, s13, 0
	s_cselect_b32 s14, s12, 0x10000
	s_lshl_b32 s21, s4, 2
	v_add_co_u32_e32 v20, vcc, s6, v0
	v_addc_co_u32_e64 v21, s[2:3], 0, 0, vcc
	v_add_co_u32_e32 v11, vcc, s21, v10
	v_addc_co_u32_e64 v14, s[2:3], 0, 0, vcc
	v_add_co_u32_e32 v10, vcc, s16, v11
	v_addc_co_u32_e32 v9, vcc, v13, v14, vcc
	v_add_co_u32_e32 v12, vcc, s8, v11
	s_lshl_b32 s5, s4, 1
	v_addc_co_u32_e32 v11, vcc, v15, v14, vcc
	v_add_co_u32_e32 v22, vcc, s5, v0
	v_addc_co_u32_e64 v23, s[2:3], 0, 0, vcc
	v_add_co_u32_e32 v24, vcc, s4, v0
	v_lshlrev_b32_e32 v16, 1, v24
	v_addc_co_u32_e64 v25, s[2:3], 0, 0, vcc
	v_add_co_u32_e32 v14, vcc, s16, v16
	v_addc_co_u32_e32 v13, vcc, 0, v13, vcc
	v_add_co_u32_e32 v16, vcc, s8, v16
	s_mov_b32 s20, 0
	v_cmp_lt_f32_e64 s[0:1], |s22|, 0.5
	v_sub_f32_e64 v17, 1.0, s22
	s_lshl_b32 s23, s4, 3
	v_addc_co_u32_e32 v15, vcc, 0, v15, vcc
	s_mov_b64 s[16:17], 0
	s_movk_i32 s24, 0x7fff
	v_mov_b32_e32 v26, 0x7fc0
	s_branch .LBB23_9
.LBB23_8:                               ;   in Loop: Header=BB23_9 Depth=1
	s_or_b64 exec, exec, s[2:3]
	s_add_u32 s16, s16, s21
	s_addc_u32 s17, s17, 0
	v_pk_mov_b32 v[18:19], s[12:13], s[12:13] op_sel:[0,1]
	v_cmp_ge_i64_e32 vcc, s[16:17], v[18:19]
	v_mov_b32_e32 v18, 0xffff
	v_mov_b32_e32 v19, 0
	v_cmp_gt_u64_e64 s[2:3], s[16:17], v[18:19]
	s_or_b64 s[2:3], vcc, s[2:3]
	v_mov_b32_e32 v18, s20
	v_add_co_u32_e32 v2, vcc, s23, v2
	v_addc_co_u32_e32 v1, vcc, v1, v18, vcc
	v_add_co_u32_e32 v4, vcc, s23, v4
	v_addc_co_u32_e32 v3, vcc, v3, v18, vcc
	;; [unrolled: 2-line block ×8, first 2 shown]
	s_and_b64 vcc, exec, s[2:3]
	s_cbranch_vccnz .LBB23_25
.LBB23_9:                               ; =>This Inner Loop Header: Depth=1
	v_mov_b32_e32 v19, s17
	v_add_co_u32_e32 v18, vcc, s16, v0
	v_addc_co_u32_e32 v19, vcc, 0, v19, vcc
	v_cmp_gt_u64_e32 vcc, s[14:15], v[18:19]
	v_pk_mov_b32 v[18:19], 0, 0
	s_waitcnt vmcnt(0)
	v_mov_b32_e32 v28, 0
	s_and_saveexec_b64 s[4:5], vcc
	s_cbranch_execz .LBB23_11
; %bb.10:                               ;   in Loop: Header=BB23_9 Depth=1
	v_mov_b32_e32 v27, s11
	v_add_co_u32_e64 v18, s[2:3], s10, v2
	v_addc_co_u32_e64 v19, s[2:3], v1, v27, s[2:3]
	global_load_ushort v29, v[18:19], off
	v_add_co_u32_e64 v18, s[2:3], s10, v4
	v_addc_co_u32_e64 v19, s[2:3], v3, v27, s[2:3]
	global_load_ushort v28, v[18:19], off
	v_mov_b32_e32 v19, s20
	s_waitcnt vmcnt(1)
	v_and_b32_e32 v18, 0xffff, v29
.LBB23_11:                              ;   in Loop: Header=BB23_9 Depth=1
	s_or_b64 exec, exec, s[4:5]
	v_mov_b32_e32 v27, s17
	v_add_co_u32_e64 v30, s[2:3], s16, v24
	v_addc_co_u32_e64 v31, s[2:3], v25, v27, s[2:3]
	v_cmp_gt_u64_e64 s[2:3], s[14:15], v[30:31]
	v_mov_b32_e32 v27, 0
	v_mov_b32_e32 v29, 0
	s_and_saveexec_b64 s[6:7], s[2:3]
	s_cbranch_execz .LBB23_13
; %bb.12:                               ;   in Loop: Header=BB23_9 Depth=1
	v_mov_b32_e32 v29, s11
	v_add_co_u32_e64 v30, s[4:5], s10, v14
	v_addc_co_u32_e64 v31, s[4:5], v13, v29, s[4:5]
	global_load_ushort v32, v[30:31], off
	v_add_co_u32_e64 v30, s[4:5], s10, v16
	v_addc_co_u32_e64 v31, s[4:5], v15, v29, s[4:5]
	global_load_ushort v29, v[30:31], off
	s_waitcnt vmcnt(1)
	v_lshl_or_b32 v18, v32, 16, v18
.LBB23_13:                              ;   in Loop: Header=BB23_9 Depth=1
	s_or_b64 exec, exec, s[6:7]
	v_mov_b32_e32 v31, s17
	v_add_co_u32_e64 v30, s[4:5], s16, v22
	v_addc_co_u32_e64 v31, s[4:5], v23, v31, s[4:5]
	v_cmp_gt_u64_e64 s[4:5], s[14:15], v[30:31]
	s_and_saveexec_b64 s[8:9], s[4:5]
	s_cbranch_execz .LBB23_15
; %bb.14:                               ;   in Loop: Header=BB23_9 Depth=1
	v_mov_b32_e32 v27, s11
	v_add_co_u32_e64 v30, s[6:7], s10, v10
	v_addc_co_u32_e64 v31, s[6:7], v9, v27, s[6:7]
	global_load_ushort v32, v[30:31], off
	v_add_co_u32_e64 v30, s[6:7], s10, v12
	v_addc_co_u32_e64 v31, s[6:7], v11, v27, s[6:7]
	global_load_ushort v27, v[30:31], off
	s_waitcnt vmcnt(1)
	v_or_b32_e32 v19, v32, v19
.LBB23_15:                              ;   in Loop: Header=BB23_9 Depth=1
	s_or_b64 exec, exec, s[8:9]
	v_mov_b32_e32 v31, s17
	v_add_co_u32_e64 v30, s[6:7], s16, v20
	v_addc_co_u32_e64 v31, s[6:7], v21, v31, s[6:7]
	v_cmp_gt_u64_e64 s[6:7], s[14:15], v[30:31]
	v_mov_b32_e32 v30, 0
	s_and_saveexec_b64 s[18:19], s[6:7]
	s_cbranch_execnz .LBB23_20
; %bb.16:                               ;   in Loop: Header=BB23_9 Depth=1
	s_or_b64 exec, exec, s[18:19]
	s_and_saveexec_b64 s[8:9], vcc
	s_cbranch_execnz .LBB23_21
.LBB23_17:                              ;   in Loop: Header=BB23_9 Depth=1
	s_or_b64 exec, exec, s[8:9]
	s_and_saveexec_b64 s[8:9], s[2:3]
	s_cbranch_execnz .LBB23_22
.LBB23_18:                              ;   in Loop: Header=BB23_9 Depth=1
	s_or_b64 exec, exec, s[8:9]
	s_and_saveexec_b64 s[2:3], s[4:5]
	s_cbranch_execnz .LBB23_23
.LBB23_19:                              ;   in Loop: Header=BB23_9 Depth=1
	s_or_b64 exec, exec, s[2:3]
	s_and_saveexec_b64 s[2:3], s[6:7]
	s_cbranch_execz .LBB23_8
	s_branch .LBB23_24
.LBB23_20:                              ;   in Loop: Header=BB23_9 Depth=1
	v_mov_b32_e32 v32, s11
	v_add_co_u32_e64 v30, s[8:9], s10, v6
	v_addc_co_u32_e64 v31, s[8:9], v5, v32, s[8:9]
	global_load_ushort v33, v[30:31], off
	v_add_co_u32_e64 v30, s[8:9], s10, v8
	v_addc_co_u32_e64 v31, s[8:9], v7, v32, s[8:9]
	global_load_ushort v30, v[30:31], off
	s_waitcnt vmcnt(1)
	v_lshlrev_b32_e32 v31, 16, v33
	v_or_b32_e32 v19, v31, v19
	s_or_b64 exec, exec, s[18:19]
	s_and_saveexec_b64 s[8:9], vcc
	s_cbranch_execz .LBB23_17
.LBB23_21:                              ;   in Loop: Header=BB23_9 Depth=1
	v_lshlrev_b32_e32 v31, 16, v18
	s_waitcnt vmcnt(0)
	v_lshlrev_b32_e32 v28, 16, v28
	v_sub_f32_e32 v32, v28, v31
	v_fmac_f32_e32 v31, s22, v32
	v_fma_f32 v28, -v17, v32, v28
	v_cndmask_b32_e64 v28, v28, v31, s[0:1]
	v_bfe_u32 v31, v28, 16, 1
	v_mov_b32_e32 v33, s11
	v_add_co_u32_e32 v32, vcc, s10, v2
	v_add3_u32 v31, v28, v31, s24
	v_addc_co_u32_e32 v33, vcc, v1, v33, vcc
	v_lshrrev_b32_e32 v31, 16, v31
	v_cmp_o_f32_e32 vcc, v28, v28
	v_cndmask_b32_e32 v28, v26, v31, vcc
	global_store_short v[32:33], v28, off
	s_or_b64 exec, exec, s[8:9]
	s_and_saveexec_b64 s[8:9], s[2:3]
	s_cbranch_execz .LBB23_18
.LBB23_22:                              ;   in Loop: Header=BB23_9 Depth=1
	s_waitcnt vmcnt(0)
	v_and_b32_e32 v28, 0xffff0000, v18
	v_lshlrev_b32_e32 v29, 16, v29
	v_sub_f32_e32 v31, v29, v28
	v_fmac_f32_e32 v28, s22, v31
	v_fma_f32 v29, -v17, v31, v29
	v_cndmask_b32_e64 v28, v29, v28, s[0:1]
	v_bfe_u32 v29, v28, 16, 1
	v_add3_u32 v29, v28, v29, s24
	v_lshrrev_b32_e32 v29, 16, v29
	v_cmp_o_f32_e32 vcc, v28, v28
	v_cndmask_b32_e32 v31, v26, v29, vcc
	v_mov_b32_e32 v29, s11
	v_add_co_u32_e32 v28, vcc, s10, v14
	v_addc_co_u32_e32 v29, vcc, v13, v29, vcc
	global_store_short v[28:29], v31, off
	s_or_b64 exec, exec, s[8:9]
	s_and_saveexec_b64 s[2:3], s[4:5]
	s_cbranch_execz .LBB23_19
.LBB23_23:                              ;   in Loop: Header=BB23_9 Depth=1
	v_alignbit_b32 v18, v19, v18, 16
	v_and_b32_e32 v18, 0xffff0000, v18
	s_waitcnt vmcnt(0)
	v_lshlrev_b32_e32 v27, 16, v27
	v_sub_f32_e32 v28, v27, v18
	v_fmac_f32_e32 v18, s22, v28
	v_fma_f32 v27, -v17, v28, v27
	v_cndmask_b32_e64 v18, v27, v18, s[0:1]
	v_bfe_u32 v27, v18, 16, 1
	v_add3_u32 v27, v18, v27, s24
	v_lshrrev_b32_e32 v27, 16, v27
	v_cmp_o_f32_e32 vcc, v18, v18
	v_cndmask_b32_e32 v18, v26, v27, vcc
	v_mov_b32_e32 v27, s11
	v_add_co_u32_e32 v28, vcc, s10, v10
	v_addc_co_u32_e32 v29, vcc, v9, v27, vcc
	global_store_short v[28:29], v18, off
	s_or_b64 exec, exec, s[2:3]
	s_and_saveexec_b64 s[2:3], s[6:7]
	s_cbranch_execz .LBB23_8
.LBB23_24:                              ;   in Loop: Header=BB23_9 Depth=1
	v_and_b32_e32 v18, 0xffff0000, v19
	s_waitcnt vmcnt(0)
	v_lshlrev_b32_e32 v19, 16, v30
	v_sub_f32_e32 v27, v19, v18
	v_fmac_f32_e32 v18, s22, v27
	v_fma_f32 v19, -v17, v27, v19
	v_cndmask_b32_e64 v18, v19, v18, s[0:1]
	v_bfe_u32 v19, v18, 16, 1
	v_add3_u32 v19, v18, v19, s24
	v_lshrrev_b32_e32 v19, 16, v19
	v_cmp_o_f32_e32 vcc, v18, v18
	v_cndmask_b32_e32 v27, v26, v19, vcc
	v_mov_b32_e32 v19, s11
	v_add_co_u32_e32 v18, vcc, s10, v6
	v_addc_co_u32_e32 v19, vcc, v5, v19, vcc
	global_store_short v[18:19], v27, off
	s_branch .LBB23_8
.LBB23_25:
	s_endpgm
	.section	.rodata,"a",@progbits
	.p2align	6, 0x0
	.amdhsa_kernel _ZN2at6native12_GLOBAL__N_125multi_tensor_apply_kernelINS1_18TensorListMetadataILi2EEENS1_22TernaryOpScalarFunctorIN3c108BFloat16ELi2ELi2ELi0EEEJNS0_11LerpFunctorIfEEfEEEvT_T0_DpT1_
		.amdhsa_group_segment_fixed_size 0
		.amdhsa_private_segment_fixed_size 0
		.amdhsa_kernarg_size 3408
		.amdhsa_user_sgpr_count 6
		.amdhsa_user_sgpr_private_segment_buffer 1
		.amdhsa_user_sgpr_dispatch_ptr 0
		.amdhsa_user_sgpr_queue_ptr 0
		.amdhsa_user_sgpr_kernarg_segment_ptr 1
		.amdhsa_user_sgpr_dispatch_id 0
		.amdhsa_user_sgpr_flat_scratch_init 0
		.amdhsa_user_sgpr_kernarg_preload_length 0
		.amdhsa_user_sgpr_kernarg_preload_offset 0
		.amdhsa_user_sgpr_private_segment_size 0
		.amdhsa_uses_dynamic_stack 0
		.amdhsa_system_sgpr_private_segment_wavefront_offset 0
		.amdhsa_system_sgpr_workgroup_id_x 1
		.amdhsa_system_sgpr_workgroup_id_y 0
		.amdhsa_system_sgpr_workgroup_id_z 0
		.amdhsa_system_sgpr_workgroup_info 0
		.amdhsa_system_vgpr_workitem_id 0
		.amdhsa_next_free_vgpr 34
		.amdhsa_next_free_sgpr 26
		.amdhsa_accum_offset 36
		.amdhsa_reserve_vcc 1
		.amdhsa_reserve_flat_scratch 0
		.amdhsa_float_round_mode_32 0
		.amdhsa_float_round_mode_16_64 0
		.amdhsa_float_denorm_mode_32 3
		.amdhsa_float_denorm_mode_16_64 3
		.amdhsa_dx10_clamp 1
		.amdhsa_ieee_mode 1
		.amdhsa_fp16_overflow 0
		.amdhsa_tg_split 0
		.amdhsa_exception_fp_ieee_invalid_op 0
		.amdhsa_exception_fp_denorm_src 0
		.amdhsa_exception_fp_ieee_div_zero 0
		.amdhsa_exception_fp_ieee_overflow 0
		.amdhsa_exception_fp_ieee_underflow 0
		.amdhsa_exception_fp_ieee_inexact 0
		.amdhsa_exception_int_div_zero 0
	.end_amdhsa_kernel
	.section	.text._ZN2at6native12_GLOBAL__N_125multi_tensor_apply_kernelINS1_18TensorListMetadataILi2EEENS1_22TernaryOpScalarFunctorIN3c108BFloat16ELi2ELi2ELi0EEEJNS0_11LerpFunctorIfEEfEEEvT_T0_DpT1_,"axG",@progbits,_ZN2at6native12_GLOBAL__N_125multi_tensor_apply_kernelINS1_18TensorListMetadataILi2EEENS1_22TernaryOpScalarFunctorIN3c108BFloat16ELi2ELi2ELi0EEEJNS0_11LerpFunctorIfEEfEEEvT_T0_DpT1_,comdat
.Lfunc_end23:
	.size	_ZN2at6native12_GLOBAL__N_125multi_tensor_apply_kernelINS1_18TensorListMetadataILi2EEENS1_22TernaryOpScalarFunctorIN3c108BFloat16ELi2ELi2ELi0EEEJNS0_11LerpFunctorIfEEfEEEvT_T0_DpT1_, .Lfunc_end23-_ZN2at6native12_GLOBAL__N_125multi_tensor_apply_kernelINS1_18TensorListMetadataILi2EEENS1_22TernaryOpScalarFunctorIN3c108BFloat16ELi2ELi2ELi0EEEJNS0_11LerpFunctorIfEEfEEEvT_T0_DpT1_
                                        ; -- End function
	.section	.AMDGPU.csdata,"",@progbits
; Kernel info:
; codeLenInByte = 2056
; NumSgprs: 30
; NumVgprs: 34
; NumAgprs: 0
; TotalNumVgprs: 34
; ScratchSize: 0
; MemoryBound: 0
; FloatMode: 240
; IeeeMode: 1
; LDSByteSize: 0 bytes/workgroup (compile time only)
; SGPRBlocks: 3
; VGPRBlocks: 4
; NumSGPRsForWavesPerEU: 30
; NumVGPRsForWavesPerEU: 34
; AccumOffset: 36
; Occupancy: 8
; WaveLimiterHint : 0
; COMPUTE_PGM_RSRC2:SCRATCH_EN: 0
; COMPUTE_PGM_RSRC2:USER_SGPR: 6
; COMPUTE_PGM_RSRC2:TRAP_HANDLER: 0
; COMPUTE_PGM_RSRC2:TGID_X_EN: 1
; COMPUTE_PGM_RSRC2:TGID_Y_EN: 0
; COMPUTE_PGM_RSRC2:TGID_Z_EN: 0
; COMPUTE_PGM_RSRC2:TIDIG_COMP_CNT: 0
; COMPUTE_PGM_RSRC3_GFX90A:ACCUM_OFFSET: 8
; COMPUTE_PGM_RSRC3_GFX90A:TG_SPLIT: 0
	.section	.text._ZN2at6native12_GLOBAL__N_125multi_tensor_apply_kernelINS1_28TensorListScalarListMetadataIdLi3EEENS1_26TernaryOpScalarListFunctorIdLi3ELi2ELi2EEEJNS0_11LerpFunctorIdEEEEEvT_T0_DpT1_,"axG",@progbits,_ZN2at6native12_GLOBAL__N_125multi_tensor_apply_kernelINS1_28TensorListScalarListMetadataIdLi3EEENS1_26TernaryOpScalarListFunctorIdLi3ELi2ELi2EEEJNS0_11LerpFunctorIdEEEEEvT_T0_DpT1_,comdat
	.globl	_ZN2at6native12_GLOBAL__N_125multi_tensor_apply_kernelINS1_28TensorListScalarListMetadataIdLi3EEENS1_26TernaryOpScalarListFunctorIdLi3ELi2ELi2EEEJNS0_11LerpFunctorIdEEEEEvT_T0_DpT1_ ; -- Begin function _ZN2at6native12_GLOBAL__N_125multi_tensor_apply_kernelINS1_28TensorListScalarListMetadataIdLi3EEENS1_26TernaryOpScalarListFunctorIdLi3ELi2ELi2EEEJNS0_11LerpFunctorIdEEEEEvT_T0_DpT1_
	.p2align	8
	.type	_ZN2at6native12_GLOBAL__N_125multi_tensor_apply_kernelINS1_28TensorListScalarListMetadataIdLi3EEENS1_26TernaryOpScalarListFunctorIdLi3ELi2ELi2EEEJNS0_11LerpFunctorIdEEEEEvT_T0_DpT1_,@function
_ZN2at6native12_GLOBAL__N_125multi_tensor_apply_kernelINS1_28TensorListScalarListMetadataIdLi3EEENS1_26TernaryOpScalarListFunctorIdLi3ELi2ELi2EEEJNS0_11LerpFunctorIdEEEEEvT_T0_DpT1_: ; @_ZN2at6native12_GLOBAL__N_125multi_tensor_apply_kernelINS1_28TensorListScalarListMetadataIdLi3EEENS1_26TernaryOpScalarListFunctorIdLi3ELi2ELi2EEEJNS0_11LerpFunctorIdEEEEEvT_T0_DpT1_
; %bb.0:
	v_mov_b32_e32 v1, s6
	global_load_ubyte v1, v1, s[4:5] offset:1920
	s_add_u32 s0, s4, s6
	s_mul_hi_u32 s3, s6, 3
	s_mul_i32 s6, s6, 3
	s_addc_u32 s7, s5, 0
	s_add_u32 s2, s0, s6
	s_addc_u32 s3, s7, s3
	s_load_dword s2, s[2:3], 0x8c0
	s_mov_b32 s1, 0
	s_mov_b32 s7, s1
	s_waitcnt lgkmcnt(0)
	s_ashr_i32 s3, s2, 31
	s_lshl_b64 s[12:13], s[2:3], 19
	s_waitcnt vmcnt(0)
	v_readfirstlane_b32 s0, v1
	s_lshl_b32 s0, s0, 3
	s_load_dwordx2 s[10:11], s[4:5], s0 offset:0x600
	s_load_dwordx2 s[20:21], s[4:5], s0 offset:0x0
	;; [unrolled: 1-line block ×5, first 2 shown]
	s_waitcnt lgkmcnt(0)
	s_add_u32 s26, s20, s12
	s_addc_u32 s27, s21, s13
	s_and_b32 s0, s26, 31
	s_add_u32 s28, s18, s12
	s_addc_u32 s29, s19, s13
	s_add_u32 s30, s8, s12
	s_addc_u32 s31, s9, s13
	s_or_b32 s6, s30, s28
	s_and_b32 s6, s6, 31
	s_cmp_lg_u32 s6, 0
	s_cselect_b64 s[22:23], -1, 0
	s_lshl_b64 s[2:3], s[2:3], 16
	s_sub_u32 s14, s16, s2
	s_subb_u32 s15, s17, s3
	s_and_b32 s6, s16, 3
	s_or_b64 s[2:3], s[0:1], s[6:7]
	s_cmp_lg_u64 s[2:3], 0
	s_cselect_b64 s[2:3], -1, 0
	s_or_b64 s[2:3], s[22:23], s[2:3]
	s_andn2_b64 vcc, exec, s[2:3]
	s_mov_b64 s[2:3], -1
	s_cbranch_vccz .LBB24_5
; %bb.1:
	v_mov_b32_e32 v3, 0
	v_lshlrev_b32_e32 v2, 2, v0
	v_cmp_gt_i64_e32 vcc, s[14:15], v[2:3]
	s_and_saveexec_b64 s[16:17], vcc
	s_cbranch_execz .LBB24_4
; %bb.2:
	s_load_dword s0, s[4:5], 0xdd4
	v_cmp_lt_f64_e64 vcc, |s[10:11]|, 0.5
	v_add_f64 v[4:5], -s[10:11], 1.0
	v_lshlrev_b32_e32 v6, 5, v0
	s_mov_b64 s[22:23], 0
	s_waitcnt lgkmcnt(0)
	s_and_b32 s0, s0, 0xffff
	v_add_lshl_u32 v2, v0, s0, 2
	s_lshl_b32 s33, s0, 2
	s_lshl_b32 s34, s0, 5
	s_mov_b64 s[24:25], 0xffff
	v_mov_b32_e32 v1, s1
.LBB24_3:                               ; =>This Inner Loop Header: Depth=1
	v_mov_b32_e32 v7, s27
	v_add_co_u32_e64 v26, s[2:3], s26, v6
	v_mov_b32_e32 v8, s29
	v_add_co_u32_e64 v24, s[0:1], s28, v6
	v_addc_co_u32_e64 v27, s[2:3], 0, v7, s[2:3]
	v_addc_co_u32_e64 v25, s[0:1], 0, v8, s[0:1]
	global_load_dwordx4 v[8:11], v[26:27], off
	global_load_dwordx4 v[12:15], v[24:25], off
	global_load_dwordx4 v[16:19], v[26:27], off offset:16
	global_load_dwordx4 v[20:23], v[24:25], off offset:16
	v_cmp_le_i64_e64 s[0:1], s[14:15], v[2:3]
	v_cmp_lt_u64_e64 s[2:3], s[24:25], v[2:3]
	s_or_b64 s[0:1], s[0:1], s[2:3]
	v_add_co_u32_e64 v2, s[6:7], s33, v2
	s_add_u32 s26, s26, s34
	v_addc_co_u32_e64 v3, s[6:7], v3, v1, s[6:7]
	s_addc_u32 s27, s27, 0
	v_add_co_u32_e64 v24, s[6:7], s30, v6
	s_add_u32 s30, s30, s34
	v_mov_b32_e32 v7, s31
	s_addc_u32 s31, s31, 0
	s_add_u32 s28, s28, s34
	s_addc_u32 s29, s29, 0
	s_and_b64 s[0:1], exec, s[0:1]
	v_addc_co_u32_e64 v25, s[6:7], 0, v7, s[6:7]
	s_or_b64 s[22:23], s[0:1], s[22:23]
	s_waitcnt vmcnt(2)
	v_add_f64 v[26:27], v[12:13], -v[8:9]
	v_add_f64 v[28:29], v[14:15], -v[10:11]
	s_waitcnt vmcnt(0)
	v_add_f64 v[30:31], v[20:21], -v[16:17]
	v_add_f64 v[32:33], v[22:23], -v[18:19]
	v_fmac_f64_e32 v[8:9], s[10:11], v[26:27]
	v_fma_f64 v[12:13], -v[4:5], v[26:27], v[12:13]
	v_fmac_f64_e32 v[10:11], s[10:11], v[28:29]
	v_fma_f64 v[14:15], -v[4:5], v[28:29], v[14:15]
	;; [unrolled: 2-line block ×4, first 2 shown]
	v_cndmask_b32_e32 v9, v13, v9, vcc
	v_cndmask_b32_e32 v8, v12, v8, vcc
	v_cndmask_b32_e32 v11, v15, v11, vcc
	v_cndmask_b32_e32 v10, v14, v10, vcc
	v_cndmask_b32_e32 v13, v21, v17, vcc
	v_cndmask_b32_e32 v12, v20, v16, vcc
	v_cndmask_b32_e32 v15, v23, v19, vcc
	v_cndmask_b32_e32 v14, v22, v18, vcc
	global_store_dwordx4 v[24:25], v[8:11], off
	global_store_dwordx4 v[24:25], v[12:15], off offset:16
	s_andn2_b64 exec, exec, s[22:23]
	s_cbranch_execnz .LBB24_3
.LBB24_4:
	s_or_b64 exec, exec, s[16:17]
	s_mov_b64 s[2:3], 0
.LBB24_5:
	s_andn2_b64 vcc, exec, s[2:3]
	s_cbranch_vccnz .LBB24_25
; %bb.6:
	v_cmp_lt_i64_e64 s[0:1], s[14:15], 1
	s_and_b64 vcc, exec, s[0:1]
	s_cbranch_vccnz .LBB24_25
; %bb.7:
	s_load_dword s0, s[4:5], 0xdd4
	v_mov_b32_e32 v2, 0x10000
	v_mov_b32_e32 v3, 0
	v_cmp_lt_u64_e32 vcc, s[14:15], v[2:3]
	v_lshlrev_b32_e32 v16, 3, v0
	s_waitcnt lgkmcnt(0)
	s_and_b32 s4, s0, 0xffff
	s_and_b64 s[0:1], vcc, exec
	v_mov_b32_e32 v21, s21
	v_add_co_u32_e32 v4, vcc, s20, v16
	v_addc_co_u32_e32 v1, vcc, 0, v21, vcc
	v_mov_b32_e32 v23, s19
	v_add_co_u32_e32 v6, vcc, s18, v16
	v_addc_co_u32_e32 v5, vcc, 0, v23, vcc
	v_mov_b32_e32 v17, 0
	v_mov_b32_e32 v25, s9
	v_add_co_u32_e32 v8, vcc, s8, v16
	v_addc_co_u32_e32 v7, vcc, 0, v25, vcc
	v_mad_u64_u32 v[14:15], s[2:3], s4, 24, v[16:17]
	v_add_co_u32_e32 v10, vcc, s20, v14
	v_addc_co_u32_e32 v9, vcc, v21, v15, vcc
	v_add_co_u32_e32 v12, vcc, s18, v14
	v_addc_co_u32_e32 v11, vcc, v23, v15, vcc
	v_add_co_u32_e32 v14, vcc, s8, v14
	s_mul_i32 s6, s4, 3
	v_addc_co_u32_e32 v13, vcc, v25, v15, vcc
	v_add_co_u32_e32 v27, vcc, s6, v0
	v_addc_co_u32_e64 v44, s[2:3], 0, 0, vcc
	s_cselect_b32 s17, s15, 0
	s_cselect_b32 s16, s14, 0x10000
	s_lshl_b32 s2, s4, 4
	v_add_co_u32_e32 v19, vcc, s2, v16
	v_addc_co_u32_e64 v22, s[2:3], 0, 0, vcc
	v_add_co_u32_e32 v16, vcc, s20, v19
	v_addc_co_u32_e32 v15, vcc, v21, v22, vcc
	v_add_co_u32_e32 v18, vcc, s18, v19
	v_addc_co_u32_e32 v17, vcc, v23, v22, vcc
	v_add_co_u32_e32 v20, vcc, s8, v19
	s_lshl_b32 s5, s4, 1
	v_addc_co_u32_e32 v19, vcc, v25, v22, vcc
	v_add_co_u32_e32 v45, vcc, s5, v0
	v_addc_co_u32_e64 v46, s[2:3], 0, 0, vcc
	v_add_co_u32_e32 v47, vcc, s4, v0
	v_lshlrev_b32_e32 v26, 3, v47
	v_addc_co_u32_e64 v48, s[2:3], 0, 0, vcc
	v_add_co_u32_e32 v22, vcc, s20, v26
	v_addc_co_u32_e32 v21, vcc, 0, v21, vcc
	v_add_co_u32_e32 v24, vcc, s18, v26
	v_addc_co_u32_e32 v23, vcc, 0, v23, vcc
	v_add_co_u32_e32 v26, vcc, s8, v26
	s_mov_b32 s22, 0
	v_cmp_lt_f64_e64 s[0:1], |s[10:11]|, 0.5
	v_add_f64 v[2:3], -s[10:11], 1.0
	s_lshl_b32 s23, s4, 2
	s_lshl_b32 s24, s4, 5
	v_addc_co_u32_e32 v25, vcc, 0, v25, vcc
	s_mov_b64 s[18:19], 0
	s_branch .LBB24_9
.LBB24_8:                               ;   in Loop: Header=BB24_9 Depth=1
	s_or_b64 exec, exec, s[2:3]
	s_add_u32 s18, s18, s23
	s_addc_u32 s19, s19, 0
	s_waitcnt vmcnt(1)
	v_pk_mov_b32 v[28:29], s[14:15], s[14:15] op_sel:[0,1]
	v_cmp_ge_i64_e32 vcc, s[18:19], v[28:29]
	v_mov_b32_e32 v28, 0xffff
	v_mov_b32_e32 v29, 0
	v_cmp_gt_u64_e64 s[2:3], s[18:19], v[28:29]
	s_or_b64 s[2:3], vcc, s[2:3]
	v_mov_b32_e32 v28, s22
	v_add_co_u32_e32 v4, vcc, s24, v4
	v_addc_co_u32_e32 v1, vcc, v1, v28, vcc
	v_add_co_u32_e32 v6, vcc, s24, v6
	v_addc_co_u32_e32 v5, vcc, v5, v28, vcc
	;; [unrolled: 2-line block ×12, first 2 shown]
	s_and_b64 vcc, exec, s[2:3]
	s_cbranch_vccnz .LBB24_25
.LBB24_9:                               ; =>This Inner Loop Header: Depth=1
	v_mov_b32_e32 v29, s19
	v_add_co_u32_e32 v28, vcc, s18, v0
	v_addc_co_u32_e32 v29, vcc, 0, v29, vcc
	v_cmp_gt_u64_e32 vcc, s[16:17], v[28:29]
	v_pk_mov_b32 v[28:29], 0, 0
	v_pk_mov_b32 v[30:31], v[28:29], v[28:29] op_sel:[0,1]
	s_waitcnt vmcnt(0)
	v_pk_mov_b32 v[32:33], v[28:29], v[28:29] op_sel:[0,1]
	s_and_saveexec_b64 s[4:5], vcc
	s_cbranch_execz .LBB24_11
; %bb.10:                               ;   in Loop: Header=BB24_9 Depth=1
	v_mov_b32_e32 v30, s13
	v_add_co_u32_e64 v34, s[2:3], s12, v6
	v_addc_co_u32_e64 v35, s[2:3], v5, v30, s[2:3]
	v_add_co_u32_e64 v36, s[2:3], s12, v4
	v_addc_co_u32_e64 v37, s[2:3], v1, v30, s[2:3]
	global_load_dwordx2 v[30:31], v[36:37], off
	global_load_dwordx2 v[32:33], v[34:35], off
.LBB24_11:                              ;   in Loop: Header=BB24_9 Depth=1
	s_or_b64 exec, exec, s[4:5]
	v_mov_b32_e32 v35, s19
	v_add_co_u32_e64 v34, s[2:3], s18, v47
	v_addc_co_u32_e64 v35, s[2:3], v48, v35, s[2:3]
	v_cmp_gt_u64_e64 s[2:3], s[16:17], v[34:35]
	v_pk_mov_b32 v[36:37], v[28:29], v[28:29] op_sel:[0,1]
	s_and_saveexec_b64 s[6:7], s[2:3]
	s_cbranch_execz .LBB24_13
; %bb.12:                               ;   in Loop: Header=BB24_9 Depth=1
	v_mov_b32_e32 v28, s13
	v_add_co_u32_e64 v34, s[4:5], s12, v24
	v_addc_co_u32_e64 v35, s[4:5], v23, v28, s[4:5]
	v_add_co_u32_e64 v38, s[4:5], s12, v22
	v_addc_co_u32_e64 v39, s[4:5], v21, v28, s[4:5]
	global_load_dwordx2 v[28:29], v[38:39], off
	global_load_dwordx2 v[36:37], v[34:35], off
.LBB24_13:                              ;   in Loop: Header=BB24_9 Depth=1
	s_or_b64 exec, exec, s[6:7]
	v_mov_b32_e32 v35, s19
	v_add_co_u32_e64 v34, s[4:5], s18, v45
	v_addc_co_u32_e64 v35, s[4:5], v46, v35, s[4:5]
	v_cmp_gt_u64_e64 s[4:5], s[16:17], v[34:35]
	v_pk_mov_b32 v[34:35], 0, 0
	v_pk_mov_b32 v[38:39], v[34:35], v[34:35] op_sel:[0,1]
	v_pk_mov_b32 v[40:41], v[34:35], v[34:35] op_sel:[0,1]
	s_and_saveexec_b64 s[8:9], s[4:5]
	s_cbranch_execz .LBB24_15
; %bb.14:                               ;   in Loop: Header=BB24_9 Depth=1
	v_mov_b32_e32 v38, s13
	v_add_co_u32_e64 v42, s[6:7], s12, v18
	v_addc_co_u32_e64 v43, s[6:7], v17, v38, s[6:7]
	v_add_co_u32_e64 v50, s[6:7], s12, v16
	v_addc_co_u32_e64 v51, s[6:7], v15, v38, s[6:7]
	global_load_dwordx2 v[38:39], v[50:51], off
	global_load_dwordx2 v[40:41], v[42:43], off
.LBB24_15:                              ;   in Loop: Header=BB24_9 Depth=1
	s_or_b64 exec, exec, s[8:9]
	v_mov_b32_e32 v43, s19
	v_add_co_u32_e64 v42, s[6:7], s18, v27
	v_addc_co_u32_e64 v43, s[6:7], v44, v43, s[6:7]
	v_cmp_gt_u64_e64 s[6:7], s[16:17], v[42:43]
	v_pk_mov_b32 v[42:43], v[34:35], v[34:35] op_sel:[0,1]
	s_and_saveexec_b64 s[20:21], s[6:7]
	s_cbranch_execnz .LBB24_20
; %bb.16:                               ;   in Loop: Header=BB24_9 Depth=1
	s_or_b64 exec, exec, s[20:21]
	s_and_saveexec_b64 s[8:9], vcc
	s_cbranch_execnz .LBB24_21
.LBB24_17:                              ;   in Loop: Header=BB24_9 Depth=1
	s_or_b64 exec, exec, s[8:9]
	s_and_saveexec_b64 s[8:9], s[2:3]
	s_cbranch_execnz .LBB24_22
.LBB24_18:                              ;   in Loop: Header=BB24_9 Depth=1
	s_or_b64 exec, exec, s[8:9]
	s_and_saveexec_b64 s[2:3], s[4:5]
	s_cbranch_execnz .LBB24_23
.LBB24_19:                              ;   in Loop: Header=BB24_9 Depth=1
	s_or_b64 exec, exec, s[2:3]
	s_and_saveexec_b64 s[2:3], s[6:7]
	s_cbranch_execz .LBB24_8
	s_branch .LBB24_24
.LBB24_20:                              ;   in Loop: Header=BB24_9 Depth=1
	v_mov_b32_e32 v34, s13
	v_add_co_u32_e64 v50, s[8:9], s12, v12
	v_addc_co_u32_e64 v51, s[8:9], v11, v34, s[8:9]
	v_add_co_u32_e64 v52, s[8:9], s12, v10
	v_addc_co_u32_e64 v53, s[8:9], v9, v34, s[8:9]
	global_load_dwordx2 v[34:35], v[52:53], off
	global_load_dwordx2 v[42:43], v[50:51], off
	s_or_b64 exec, exec, s[20:21]
	s_and_saveexec_b64 s[8:9], vcc
	s_cbranch_execz .LBB24_17
.LBB24_21:                              ;   in Loop: Header=BB24_9 Depth=1
	s_waitcnt vmcnt(0)
	v_add_f64 v[52:53], v[32:33], -v[30:31]
	v_mov_b32_e32 v49, s13
	v_add_co_u32_e32 v50, vcc, s12, v8
	v_fmac_f64_e32 v[30:31], s[10:11], v[52:53]
	v_fma_f64 v[32:33], -v[2:3], v[52:53], v[32:33]
	v_addc_co_u32_e32 v51, vcc, v7, v49, vcc
	v_cndmask_b32_e64 v31, v33, v31, s[0:1]
	v_cndmask_b32_e64 v30, v32, v30, s[0:1]
	global_store_dwordx2 v[50:51], v[30:31], off
	s_or_b64 exec, exec, s[8:9]
	s_and_saveexec_b64 s[8:9], s[2:3]
	s_cbranch_execz .LBB24_18
.LBB24_22:                              ;   in Loop: Header=BB24_9 Depth=1
	s_waitcnt vmcnt(0)
	v_add_f64 v[30:31], v[36:37], -v[28:29]
	v_fmac_f64_e32 v[28:29], s[10:11], v[30:31]
	v_fma_f64 v[30:31], -v[2:3], v[30:31], v[36:37]
	v_cndmask_b32_e64 v29, v31, v29, s[0:1]
	v_cndmask_b32_e64 v28, v30, v28, s[0:1]
	v_mov_b32_e32 v31, s13
	v_add_co_u32_e32 v30, vcc, s12, v26
	v_addc_co_u32_e32 v31, vcc, v25, v31, vcc
	global_store_dwordx2 v[30:31], v[28:29], off
	s_or_b64 exec, exec, s[8:9]
	s_and_saveexec_b64 s[2:3], s[4:5]
	s_cbranch_execz .LBB24_19
.LBB24_23:                              ;   in Loop: Header=BB24_9 Depth=1
	s_waitcnt vmcnt(0)
	v_add_f64 v[28:29], v[40:41], -v[38:39]
	v_fmac_f64_e32 v[38:39], s[10:11], v[28:29]
	v_fma_f64 v[28:29], -v[2:3], v[28:29], v[40:41]
	v_mov_b32_e32 v31, s13
	v_add_co_u32_e32 v30, vcc, s12, v20
	v_cndmask_b32_e64 v29, v29, v39, s[0:1]
	v_cndmask_b32_e64 v28, v28, v38, s[0:1]
	v_addc_co_u32_e32 v31, vcc, v19, v31, vcc
	global_store_dwordx2 v[30:31], v[28:29], off
	s_or_b64 exec, exec, s[2:3]
	s_and_saveexec_b64 s[2:3], s[6:7]
	s_cbranch_execz .LBB24_8
.LBB24_24:                              ;   in Loop: Header=BB24_9 Depth=1
	s_waitcnt vmcnt(0)
	v_add_f64 v[28:29], v[42:43], -v[34:35]
	v_fmac_f64_e32 v[34:35], s[10:11], v[28:29]
	v_fma_f64 v[28:29], -v[2:3], v[28:29], v[42:43]
	v_mov_b32_e32 v31, s13
	v_add_co_u32_e32 v30, vcc, s12, v14
	v_cndmask_b32_e64 v29, v29, v35, s[0:1]
	v_cndmask_b32_e64 v28, v28, v34, s[0:1]
	v_addc_co_u32_e32 v31, vcc, v13, v31, vcc
	global_store_dwordx2 v[30:31], v[28:29], off
	s_branch .LBB24_8
.LBB24_25:
	s_endpgm
	.section	.rodata,"a",@progbits
	.p2align	6, 0x0
	.amdhsa_kernel _ZN2at6native12_GLOBAL__N_125multi_tensor_apply_kernelINS1_28TensorListScalarListMetadataIdLi3EEENS1_26TernaryOpScalarListFunctorIdLi3ELi2ELi2EEEJNS0_11LerpFunctorIdEEEEEvT_T0_DpT1_
		.amdhsa_group_segment_fixed_size 0
		.amdhsa_private_segment_fixed_size 0
		.amdhsa_kernarg_size 3784
		.amdhsa_user_sgpr_count 6
		.amdhsa_user_sgpr_private_segment_buffer 1
		.amdhsa_user_sgpr_dispatch_ptr 0
		.amdhsa_user_sgpr_queue_ptr 0
		.amdhsa_user_sgpr_kernarg_segment_ptr 1
		.amdhsa_user_sgpr_dispatch_id 0
		.amdhsa_user_sgpr_flat_scratch_init 0
		.amdhsa_user_sgpr_kernarg_preload_length 0
		.amdhsa_user_sgpr_kernarg_preload_offset 0
		.amdhsa_user_sgpr_private_segment_size 0
		.amdhsa_uses_dynamic_stack 0
		.amdhsa_system_sgpr_private_segment_wavefront_offset 0
		.amdhsa_system_sgpr_workgroup_id_x 1
		.amdhsa_system_sgpr_workgroup_id_y 0
		.amdhsa_system_sgpr_workgroup_id_z 0
		.amdhsa_system_sgpr_workgroup_info 0
		.amdhsa_system_vgpr_workitem_id 0
		.amdhsa_next_free_vgpr 54
		.amdhsa_next_free_sgpr 35
		.amdhsa_accum_offset 56
		.amdhsa_reserve_vcc 1
		.amdhsa_reserve_flat_scratch 0
		.amdhsa_float_round_mode_32 0
		.amdhsa_float_round_mode_16_64 0
		.amdhsa_float_denorm_mode_32 3
		.amdhsa_float_denorm_mode_16_64 3
		.amdhsa_dx10_clamp 1
		.amdhsa_ieee_mode 1
		.amdhsa_fp16_overflow 0
		.amdhsa_tg_split 0
		.amdhsa_exception_fp_ieee_invalid_op 0
		.amdhsa_exception_fp_denorm_src 0
		.amdhsa_exception_fp_ieee_div_zero 0
		.amdhsa_exception_fp_ieee_overflow 0
		.amdhsa_exception_fp_ieee_underflow 0
		.amdhsa_exception_fp_ieee_inexact 0
		.amdhsa_exception_int_div_zero 0
	.end_amdhsa_kernel
	.section	.text._ZN2at6native12_GLOBAL__N_125multi_tensor_apply_kernelINS1_28TensorListScalarListMetadataIdLi3EEENS1_26TernaryOpScalarListFunctorIdLi3ELi2ELi2EEEJNS0_11LerpFunctorIdEEEEEvT_T0_DpT1_,"axG",@progbits,_ZN2at6native12_GLOBAL__N_125multi_tensor_apply_kernelINS1_28TensorListScalarListMetadataIdLi3EEENS1_26TernaryOpScalarListFunctorIdLi3ELi2ELi2EEEJNS0_11LerpFunctorIdEEEEEvT_T0_DpT1_,comdat
.Lfunc_end24:
	.size	_ZN2at6native12_GLOBAL__N_125multi_tensor_apply_kernelINS1_28TensorListScalarListMetadataIdLi3EEENS1_26TernaryOpScalarListFunctorIdLi3ELi2ELi2EEEJNS0_11LerpFunctorIdEEEEEvT_T0_DpT1_, .Lfunc_end24-_ZN2at6native12_GLOBAL__N_125multi_tensor_apply_kernelINS1_28TensorListScalarListMetadataIdLi3EEENS1_26TernaryOpScalarListFunctorIdLi3ELi2ELi2EEEJNS0_11LerpFunctorIdEEEEEvT_T0_DpT1_
                                        ; -- End function
	.section	.AMDGPU.csdata,"",@progbits
; Kernel info:
; codeLenInByte = 1840
; NumSgprs: 39
; NumVgprs: 54
; NumAgprs: 0
; TotalNumVgprs: 54
; ScratchSize: 0
; MemoryBound: 0
; FloatMode: 240
; IeeeMode: 1
; LDSByteSize: 0 bytes/workgroup (compile time only)
; SGPRBlocks: 4
; VGPRBlocks: 6
; NumSGPRsForWavesPerEU: 39
; NumVGPRsForWavesPerEU: 54
; AccumOffset: 56
; Occupancy: 8
; WaveLimiterHint : 1
; COMPUTE_PGM_RSRC2:SCRATCH_EN: 0
; COMPUTE_PGM_RSRC2:USER_SGPR: 6
; COMPUTE_PGM_RSRC2:TRAP_HANDLER: 0
; COMPUTE_PGM_RSRC2:TGID_X_EN: 1
; COMPUTE_PGM_RSRC2:TGID_Y_EN: 0
; COMPUTE_PGM_RSRC2:TGID_Z_EN: 0
; COMPUTE_PGM_RSRC2:TIDIG_COMP_CNT: 0
; COMPUTE_PGM_RSRC3_GFX90A:ACCUM_OFFSET: 13
; COMPUTE_PGM_RSRC3_GFX90A:TG_SPLIT: 0
	.section	.text._ZN2at6native12_GLOBAL__N_125multi_tensor_apply_kernelINS1_28TensorListScalarListMetadataIfLi3EEENS1_26TernaryOpScalarListFunctorIfLi3ELi2ELi2EEEJNS0_11LerpFunctorIfEEEEEvT_T0_DpT1_,"axG",@progbits,_ZN2at6native12_GLOBAL__N_125multi_tensor_apply_kernelINS1_28TensorListScalarListMetadataIfLi3EEENS1_26TernaryOpScalarListFunctorIfLi3ELi2ELi2EEEJNS0_11LerpFunctorIfEEEEEvT_T0_DpT1_,comdat
	.globl	_ZN2at6native12_GLOBAL__N_125multi_tensor_apply_kernelINS1_28TensorListScalarListMetadataIfLi3EEENS1_26TernaryOpScalarListFunctorIfLi3ELi2ELi2EEEJNS0_11LerpFunctorIfEEEEEvT_T0_DpT1_ ; -- Begin function _ZN2at6native12_GLOBAL__N_125multi_tensor_apply_kernelINS1_28TensorListScalarListMetadataIfLi3EEENS1_26TernaryOpScalarListFunctorIfLi3ELi2ELi2EEEJNS0_11LerpFunctorIfEEEEEvT_T0_DpT1_
	.p2align	8
	.type	_ZN2at6native12_GLOBAL__N_125multi_tensor_apply_kernelINS1_28TensorListScalarListMetadataIfLi3EEENS1_26TernaryOpScalarListFunctorIfLi3ELi2ELi2EEEJNS0_11LerpFunctorIfEEEEEvT_T0_DpT1_,@function
_ZN2at6native12_GLOBAL__N_125multi_tensor_apply_kernelINS1_28TensorListScalarListMetadataIfLi3EEENS1_26TernaryOpScalarListFunctorIfLi3ELi2ELi2EEEJNS0_11LerpFunctorIfEEEEEvT_T0_DpT1_: ; @_ZN2at6native12_GLOBAL__N_125multi_tensor_apply_kernelINS1_28TensorListScalarListMetadataIfLi3EEENS1_26TernaryOpScalarListFunctorIfLi3ELi2ELi2EEEJNS0_11LerpFunctorIfEEEEEvT_T0_DpT1_
; %bb.0:
	v_mov_b32_e32 v1, s6
	global_load_ubyte v1, v1, s[4:5] offset:1728
	s_add_u32 s0, s4, s6
	s_mul_i32 s1, s6, 3
	s_addc_u32 s2, s5, 0
	s_mul_hi_u32 s3, s6, 3
	s_add_u32 s0, s0, s1
	s_addc_u32 s1, s2, s3
	s_load_dword s0, s[0:1], 0x800
	s_mov_b32 s3, 0
	s_waitcnt lgkmcnt(0)
	s_ashr_i32 s1, s0, 31
	s_waitcnt vmcnt(0)
	v_readfirstlane_b32 s2, v1
	s_lshl_b32 s2, s2, 3
	s_add_u32 s12, s4, s2
	s_load_dwordx2 s[20:21], s[4:5], s2 offset:0x0
	s_load_dwordx2 s[18:19], s[4:5], s2 offset:0x180
	;; [unrolled: 1-line block ×4, first 2 shown]
	v_lshlrev_b32_e32 v1, 2, v1
	s_addc_u32 s2, s5, 0
	v_mov_b32_e32 v3, s2
	v_sub_co_u32_e32 v2, vcc, s12, v1
	s_lshl_b64 s[10:11], s[0:1], 18
	v_subbrev_co_u32_e32 v1, vcc, 0, v3, vcc
	v_readfirstlane_b32 s12, v2
	v_readfirstlane_b32 s13, v1
	s_waitcnt lgkmcnt(0)
	s_add_u32 s14, s18, s10
	s_load_dword s12, s[12:13], 0x600
	s_or_b32 s13, s8, s14
	s_and_b32 s2, s20, 15
	s_and_b32 s13, s13, 15
	s_cmp_lg_u32 s13, 0
	s_cselect_b64 s[16:17], -1, 0
	s_lshl_b64 s[0:1], s[0:1], 16
	s_sub_u32 s14, s6, s0
	s_subb_u32 s15, s7, s1
	s_and_b32 s0, s6, 3
	s_or_b32 s2, s2, s0
	s_cmp_lg_u64 s[2:3], 0
	s_cselect_b64 s[0:1], -1, 0
	s_or_b64 s[0:1], s[16:17], s[0:1]
	s_andn2_b64 vcc, exec, s[0:1]
	s_mov_b64 s[0:1], -1
	s_cbranch_vccz .LBB25_5
; %bb.1:
	v_mov_b32_e32 v3, 0
	v_lshlrev_b32_e32 v2, 2, v0
	v_cmp_gt_i64_e32 vcc, s[14:15], v[2:3]
	s_and_saveexec_b64 s[16:17], vcc
	s_cbranch_execz .LBB25_4
; %bb.2:
	s_load_dword s0, s[4:5], 0xd14
	s_waitcnt lgkmcnt(0)
	v_sub_f32_e64 v4, 1.0, s12
	v_lshlrev_b32_e32 v1, 4, v0
	v_mov_b32_e32 v2, s11
	v_xor_b32_e32 v8, 0x80000000, v4
	s_and_b32 s2, s0, 0xffff
	v_add_co_u32_e64 v6, s[0:1], s10, v1
	v_cmp_lt_f32_e64 vcc, |s12|, 0.5
	s_mov_b32 s13, s12
	s_mov_b32 s22, s12
	;; [unrolled: 1-line block ×3, first 2 shown]
	v_mov_b32_e32 v5, v4
	v_addc_co_u32_e64 v1, s[0:1], 0, v2, s[0:1]
	s_lshl_b32 s28, s2, 4
	v_add_lshl_u32 v2, v0, s2, 2
	s_lshl_b32 s29, s2, 2
	s_mov_b64 s[24:25], 0
	v_mov_b32_e32 v7, s21
	v_mov_b32_e32 v10, s19
	;; [unrolled: 1-line block ×4, first 2 shown]
	s_mov_b64 s[26:27], 0xffff
	v_mov_b32_e32 v12, s3
	v_mov_b32_e32 v13, s3
.LBB25_3:                               ; =>This Inner Loop Header: Depth=1
	v_add_co_u32_e64 v22, s[0:1], s20, v6
	v_addc_co_u32_e64 v23, s[0:1], v7, v1, s[0:1]
	v_add_co_u32_e64 v24, s[0:1], s18, v6
	v_addc_co_u32_e64 v25, s[0:1], v10, v1, s[0:1]
	global_load_dwordx4 v[14:17], v[22:23], off
	global_load_dwordx4 v[18:21], v[24:25], off
	v_add_co_u32_e64 v22, s[0:1], s8, v6
	v_addc_co_u32_e64 v23, s[0:1], v11, v1, s[0:1]
	v_cmp_le_i64_e64 s[0:1], s[14:15], v[2:3]
	v_cmp_lt_u64_e64 s[2:3], s[26:27], v[2:3]
	v_add_co_u32_e64 v6, s[6:7], s28, v6
	v_addc_co_u32_e64 v1, s[6:7], v1, v12, s[6:7]
	s_or_b64 s[0:1], s[0:1], s[2:3]
	v_add_co_u32_e64 v2, s[6:7], s29, v2
	s_and_b64 s[0:1], exec, s[0:1]
	v_addc_co_u32_e64 v3, s[6:7], v3, v13, s[6:7]
	s_or_b64 s[24:25], s[0:1], s[24:25]
	s_waitcnt vmcnt(0)
	v_sub_f32_e32 v25, v21, v17
	v_sub_f32_e32 v24, v20, v16
	;; [unrolled: 1-line block ×4, first 2 shown]
	v_pk_fma_f32 v[14:15], s[12:13], v[26:27], v[14:15]
	v_pk_fma_f32 v[16:17], s[22:23], v[24:25], v[16:17]
	v_pk_fma_f32 v[18:19], v[4:5], v[26:27], v[18:19] neg_lo:[1,0,0] neg_hi:[1,0,0]
	v_pk_fma_f32 v[20:21], v[8:9], v[24:25], v[20:21]
	v_cndmask_b32_e32 v17, v21, v17, vcc
	v_cndmask_b32_e32 v16, v20, v16, vcc
	;; [unrolled: 1-line block ×4, first 2 shown]
	global_store_dwordx4 v[22:23], v[14:17], off
	s_andn2_b64 exec, exec, s[24:25]
	s_cbranch_execnz .LBB25_3
.LBB25_4:
	s_or_b64 exec, exec, s[16:17]
	s_mov_b64 s[0:1], 0
.LBB25_5:
	s_andn2_b64 vcc, exec, s[0:1]
	s_cbranch_vccnz .LBB25_25
; %bb.6:
	v_cmp_lt_i64_e64 s[0:1], s[14:15], 1
	s_and_b64 vcc, exec, s[0:1]
	s_cbranch_vccnz .LBB25_25
; %bb.7:
	s_load_dword s0, s[4:5], 0xd14
	v_mov_b32_e32 v2, 0x10000
	v_mov_b32_e32 v3, 0
	v_cmp_lt_u64_e32 vcc, s[14:15], v[2:3]
	v_lshlrev_b32_e32 v14, 2, v0
	s_waitcnt lgkmcnt(0)
	s_and_b32 s4, s0, 0xffff
	s_and_b64 s[0:1], vcc, exec
	v_mov_b32_e32 v19, s21
	v_add_co_u32_e32 v2, vcc, s20, v14
	v_addc_co_u32_e32 v1, vcc, 0, v19, vcc
	v_mov_b32_e32 v21, s19
	v_add_co_u32_e32 v4, vcc, s18, v14
	v_addc_co_u32_e32 v3, vcc, 0, v21, vcc
	v_mov_b32_e32 v15, 0
	v_mov_b32_e32 v23, s9
	v_add_co_u32_e32 v6, vcc, s8, v14
	v_addc_co_u32_e32 v5, vcc, 0, v23, vcc
	v_mad_u64_u32 v[12:13], s[2:3], s4, 12, v[14:15]
	v_add_co_u32_e32 v8, vcc, s20, v12
	v_addc_co_u32_e32 v7, vcc, v19, v13, vcc
	v_add_co_u32_e32 v10, vcc, s18, v12
	v_addc_co_u32_e32 v9, vcc, v21, v13, vcc
	v_add_co_u32_e32 v12, vcc, s8, v12
	s_mul_i32 s6, s4, 3
	v_addc_co_u32_e32 v11, vcc, v23, v13, vcc
	v_add_co_u32_e32 v26, vcc, s6, v0
	v_addc_co_u32_e64 v27, s[2:3], 0, 0, vcc
	s_cselect_b32 s17, s15, 0
	s_cselect_b32 s16, s14, 0x10000
	s_lshl_b32 s2, s4, 3
	v_add_co_u32_e32 v17, vcc, s2, v14
	v_addc_co_u32_e64 v20, s[2:3], 0, 0, vcc
	v_add_co_u32_e32 v14, vcc, s20, v17
	v_addc_co_u32_e32 v13, vcc, v19, v20, vcc
	v_add_co_u32_e32 v16, vcc, s18, v17
	v_addc_co_u32_e32 v15, vcc, v21, v20, vcc
	v_add_co_u32_e32 v18, vcc, s8, v17
	s_lshl_b32 s5, s4, 1
	v_addc_co_u32_e32 v17, vcc, v23, v20, vcc
	v_add_co_u32_e32 v28, vcc, s5, v0
	v_addc_co_u32_e64 v29, s[2:3], 0, 0, vcc
	v_add_co_u32_e32 v30, vcc, s4, v0
	v_lshlrev_b32_e32 v24, 2, v30
	v_addc_co_u32_e64 v31, s[2:3], 0, 0, vcc
	v_add_co_u32_e32 v20, vcc, s20, v24
	v_addc_co_u32_e32 v19, vcc, 0, v19, vcc
	v_add_co_u32_e32 v22, vcc, s18, v24
	v_addc_co_u32_e32 v21, vcc, 0, v21, vcc
	v_add_co_u32_e32 v24, vcc, s8, v24
	s_mov_b32 s13, 0
	v_cmp_lt_f32_e64 s[0:1], |s12|, 0.5
	v_sub_f32_e64 v25, 1.0, s12
	s_lshl_b32 s22, s4, 2
	s_lshl_b32 s23, s4, 4
	v_addc_co_u32_e32 v23, vcc, 0, v23, vcc
	s_mov_b64 s[18:19], 0
	s_branch .LBB25_9
.LBB25_8:                               ;   in Loop: Header=BB25_9 Depth=1
	s_or_b64 exec, exec, s[2:3]
	s_add_u32 s18, s18, s22
	s_addc_u32 s19, s19, 0
	s_waitcnt vmcnt(1)
	v_pk_mov_b32 v[32:33], s[14:15], s[14:15] op_sel:[0,1]
	v_cmp_ge_i64_e32 vcc, s[18:19], v[32:33]
	v_mov_b32_e32 v32, 0xffff
	v_mov_b32_e32 v33, 0
	v_cmp_gt_u64_e64 s[2:3], s[18:19], v[32:33]
	s_or_b64 s[2:3], vcc, s[2:3]
	v_mov_b32_e32 v32, s13
	v_add_co_u32_e32 v2, vcc, s23, v2
	v_addc_co_u32_e32 v1, vcc, v1, v32, vcc
	v_add_co_u32_e32 v4, vcc, s23, v4
	v_addc_co_u32_e32 v3, vcc, v3, v32, vcc
	;; [unrolled: 2-line block ×12, first 2 shown]
	s_and_b64 vcc, exec, s[2:3]
	s_cbranch_vccnz .LBB25_25
.LBB25_9:                               ; =>This Inner Loop Header: Depth=1
	v_mov_b32_e32 v33, s19
	v_add_co_u32_e32 v32, vcc, s18, v0
	v_addc_co_u32_e32 v33, vcc, 0, v33, vcc
	v_cmp_gt_u64_e32 vcc, s[16:17], v[32:33]
	v_mov_b32_e32 v32, 0
	s_waitcnt vmcnt(0)
	v_mov_b32_e32 v34, 0
	s_and_saveexec_b64 s[4:5], vcc
	s_cbranch_execz .LBB25_11
; %bb.10:                               ;   in Loop: Header=BB25_9 Depth=1
	v_mov_b32_e32 v32, s11
	v_add_co_u32_e64 v36, s[2:3], s10, v4
	v_addc_co_u32_e64 v37, s[2:3], v3, v32, s[2:3]
	v_add_co_u32_e64 v38, s[2:3], s10, v2
	v_addc_co_u32_e64 v39, s[2:3], v1, v32, s[2:3]
	global_load_dword v32, v[38:39], off
	global_load_dword v34, v[36:37], off
.LBB25_11:                              ;   in Loop: Header=BB25_9 Depth=1
	s_or_b64 exec, exec, s[4:5]
	v_mov_b32_e32 v33, s19
	v_add_co_u32_e64 v36, s[2:3], s18, v30
	v_addc_co_u32_e64 v37, s[2:3], v31, v33, s[2:3]
	v_cmp_gt_u64_e64 s[2:3], s[16:17], v[36:37]
	v_mov_b32_e32 v33, 0
	v_mov_b32_e32 v35, 0
	;; [unrolled: 1-line block ×3, first 2 shown]
	s_and_saveexec_b64 s[6:7], s[2:3]
	s_cbranch_execz .LBB25_13
; %bb.12:                               ;   in Loop: Header=BB25_9 Depth=1
	v_mov_b32_e32 v35, s11
	v_add_co_u32_e64 v38, s[4:5], s10, v22
	v_addc_co_u32_e64 v39, s[4:5], v21, v35, s[4:5]
	v_add_co_u32_e64 v40, s[4:5], s10, v20
	v_addc_co_u32_e64 v41, s[4:5], v19, v35, s[4:5]
	global_load_dword v35, v[40:41], off
	global_load_dword v36, v[38:39], off
.LBB25_13:                              ;   in Loop: Header=BB25_9 Depth=1
	s_or_b64 exec, exec, s[6:7]
	v_mov_b32_e32 v37, s19
	v_add_co_u32_e64 v38, s[4:5], s18, v28
	v_addc_co_u32_e64 v39, s[4:5], v29, v37, s[4:5]
	v_cmp_gt_u64_e64 s[4:5], s[16:17], v[38:39]
	v_mov_b32_e32 v37, 0
	s_and_saveexec_b64 s[8:9], s[4:5]
	s_cbranch_execz .LBB25_15
; %bb.14:                               ;   in Loop: Header=BB25_9 Depth=1
	v_mov_b32_e32 v33, s11
	v_add_co_u32_e64 v38, s[6:7], s10, v16
	v_addc_co_u32_e64 v39, s[6:7], v15, v33, s[6:7]
	v_add_co_u32_e64 v40, s[6:7], s10, v14
	v_addc_co_u32_e64 v41, s[6:7], v13, v33, s[6:7]
	global_load_dword v33, v[40:41], off
	global_load_dword v37, v[38:39], off
.LBB25_15:                              ;   in Loop: Header=BB25_9 Depth=1
	s_or_b64 exec, exec, s[8:9]
	v_mov_b32_e32 v39, s19
	v_add_co_u32_e64 v38, s[6:7], s18, v26
	v_addc_co_u32_e64 v39, s[6:7], v27, v39, s[6:7]
	v_cmp_gt_u64_e64 s[6:7], s[16:17], v[38:39]
	v_mov_b32_e32 v38, 0
	v_mov_b32_e32 v39, 0
	s_and_saveexec_b64 s[20:21], s[6:7]
	s_cbranch_execnz .LBB25_20
; %bb.16:                               ;   in Loop: Header=BB25_9 Depth=1
	s_or_b64 exec, exec, s[20:21]
	s_and_saveexec_b64 s[8:9], vcc
	s_cbranch_execnz .LBB25_21
.LBB25_17:                              ;   in Loop: Header=BB25_9 Depth=1
	s_or_b64 exec, exec, s[8:9]
	s_and_saveexec_b64 s[8:9], s[2:3]
	s_cbranch_execnz .LBB25_22
.LBB25_18:                              ;   in Loop: Header=BB25_9 Depth=1
	s_or_b64 exec, exec, s[8:9]
	s_and_saveexec_b64 s[2:3], s[4:5]
	s_cbranch_execnz .LBB25_23
.LBB25_19:                              ;   in Loop: Header=BB25_9 Depth=1
	s_or_b64 exec, exec, s[2:3]
	s_and_saveexec_b64 s[2:3], s[6:7]
	s_cbranch_execz .LBB25_8
	s_branch .LBB25_24
.LBB25_20:                              ;   in Loop: Header=BB25_9 Depth=1
	v_mov_b32_e32 v38, s11
	v_add_co_u32_e64 v40, s[8:9], s10, v10
	v_addc_co_u32_e64 v41, s[8:9], v9, v38, s[8:9]
	v_add_co_u32_e64 v42, s[8:9], s10, v8
	v_addc_co_u32_e64 v43, s[8:9], v7, v38, s[8:9]
	global_load_dword v38, v[42:43], off
	global_load_dword v39, v[40:41], off
	s_or_b64 exec, exec, s[20:21]
	s_and_saveexec_b64 s[8:9], vcc
	s_cbranch_execz .LBB25_17
.LBB25_21:                              ;   in Loop: Header=BB25_9 Depth=1
	s_waitcnt vmcnt(0)
	v_sub_f32_e32 v42, v34, v32
	v_mov_b32_e32 v41, s11
	v_add_co_u32_e32 v40, vcc, s10, v6
	v_fmac_f32_e32 v32, s12, v42
	v_fma_f32 v34, -v25, v42, v34
	v_addc_co_u32_e32 v41, vcc, v5, v41, vcc
	v_cndmask_b32_e64 v32, v34, v32, s[0:1]
	global_store_dword v[40:41], v32, off
	s_or_b64 exec, exec, s[8:9]
	s_and_saveexec_b64 s[8:9], s[2:3]
	s_cbranch_execz .LBB25_18
.LBB25_22:                              ;   in Loop: Header=BB25_9 Depth=1
	s_waitcnt vmcnt(0)
	v_sub_f32_e32 v32, v36, v35
	v_fmac_f32_e32 v35, s12, v32
	v_fma_f32 v32, -v25, v32, v36
	v_cndmask_b32_e64 v32, v32, v35, s[0:1]
	v_mov_b32_e32 v35, s11
	v_add_co_u32_e32 v34, vcc, s10, v24
	v_addc_co_u32_e32 v35, vcc, v23, v35, vcc
	global_store_dword v[34:35], v32, off
	s_or_b64 exec, exec, s[8:9]
	s_and_saveexec_b64 s[2:3], s[4:5]
	s_cbranch_execz .LBB25_19
.LBB25_23:                              ;   in Loop: Header=BB25_9 Depth=1
	s_waitcnt vmcnt(0)
	v_sub_f32_e32 v32, v37, v33
	v_fmac_f32_e32 v33, s12, v32
	v_fma_f32 v32, -v25, v32, v37
	v_cndmask_b32_e64 v34, v32, v33, s[0:1]
	v_mov_b32_e32 v33, s11
	v_add_co_u32_e32 v32, vcc, s10, v18
	v_addc_co_u32_e32 v33, vcc, v17, v33, vcc
	global_store_dword v[32:33], v34, off
	s_or_b64 exec, exec, s[2:3]
	s_and_saveexec_b64 s[2:3], s[6:7]
	s_cbranch_execz .LBB25_8
.LBB25_24:                              ;   in Loop: Header=BB25_9 Depth=1
	s_waitcnt vmcnt(0)
	v_sub_f32_e32 v32, v39, v38
	v_fmac_f32_e32 v38, s12, v32
	v_fma_f32 v32, -v25, v32, v39
	v_cndmask_b32_e64 v34, v32, v38, s[0:1]
	v_mov_b32_e32 v33, s11
	v_add_co_u32_e32 v32, vcc, s10, v12
	v_addc_co_u32_e32 v33, vcc, v11, v33, vcc
	global_store_dword v[32:33], v34, off
	s_branch .LBB25_8
.LBB25_25:
	s_endpgm
	.section	.rodata,"a",@progbits
	.p2align	6, 0x0
	.amdhsa_kernel _ZN2at6native12_GLOBAL__N_125multi_tensor_apply_kernelINS1_28TensorListScalarListMetadataIfLi3EEENS1_26TernaryOpScalarListFunctorIfLi3ELi2ELi2EEEJNS0_11LerpFunctorIfEEEEEvT_T0_DpT1_
		.amdhsa_group_segment_fixed_size 0
		.amdhsa_private_segment_fixed_size 0
		.amdhsa_kernarg_size 3592
		.amdhsa_user_sgpr_count 6
		.amdhsa_user_sgpr_private_segment_buffer 1
		.amdhsa_user_sgpr_dispatch_ptr 0
		.amdhsa_user_sgpr_queue_ptr 0
		.amdhsa_user_sgpr_kernarg_segment_ptr 1
		.amdhsa_user_sgpr_dispatch_id 0
		.amdhsa_user_sgpr_flat_scratch_init 0
		.amdhsa_user_sgpr_kernarg_preload_length 0
		.amdhsa_user_sgpr_kernarg_preload_offset 0
		.amdhsa_user_sgpr_private_segment_size 0
		.amdhsa_uses_dynamic_stack 0
		.amdhsa_system_sgpr_private_segment_wavefront_offset 0
		.amdhsa_system_sgpr_workgroup_id_x 1
		.amdhsa_system_sgpr_workgroup_id_y 0
		.amdhsa_system_sgpr_workgroup_id_z 0
		.amdhsa_system_sgpr_workgroup_info 0
		.amdhsa_system_vgpr_workitem_id 0
		.amdhsa_next_free_vgpr 44
		.amdhsa_next_free_sgpr 30
		.amdhsa_accum_offset 44
		.amdhsa_reserve_vcc 1
		.amdhsa_reserve_flat_scratch 0
		.amdhsa_float_round_mode_32 0
		.amdhsa_float_round_mode_16_64 0
		.amdhsa_float_denorm_mode_32 3
		.amdhsa_float_denorm_mode_16_64 3
		.amdhsa_dx10_clamp 1
		.amdhsa_ieee_mode 1
		.amdhsa_fp16_overflow 0
		.amdhsa_tg_split 0
		.amdhsa_exception_fp_ieee_invalid_op 0
		.amdhsa_exception_fp_denorm_src 0
		.amdhsa_exception_fp_ieee_div_zero 0
		.amdhsa_exception_fp_ieee_overflow 0
		.amdhsa_exception_fp_ieee_underflow 0
		.amdhsa_exception_fp_ieee_inexact 0
		.amdhsa_exception_int_div_zero 0
	.end_amdhsa_kernel
	.section	.text._ZN2at6native12_GLOBAL__N_125multi_tensor_apply_kernelINS1_28TensorListScalarListMetadataIfLi3EEENS1_26TernaryOpScalarListFunctorIfLi3ELi2ELi2EEEJNS0_11LerpFunctorIfEEEEEvT_T0_DpT1_,"axG",@progbits,_ZN2at6native12_GLOBAL__N_125multi_tensor_apply_kernelINS1_28TensorListScalarListMetadataIfLi3EEENS1_26TernaryOpScalarListFunctorIfLi3ELi2ELi2EEEJNS0_11LerpFunctorIfEEEEEvT_T0_DpT1_,comdat
.Lfunc_end25:
	.size	_ZN2at6native12_GLOBAL__N_125multi_tensor_apply_kernelINS1_28TensorListScalarListMetadataIfLi3EEENS1_26TernaryOpScalarListFunctorIfLi3ELi2ELi2EEEJNS0_11LerpFunctorIfEEEEEvT_T0_DpT1_, .Lfunc_end25-_ZN2at6native12_GLOBAL__N_125multi_tensor_apply_kernelINS1_28TensorListScalarListMetadataIfLi3EEENS1_26TernaryOpScalarListFunctorIfLi3ELi2ELi2EEEJNS0_11LerpFunctorIfEEEEEvT_T0_DpT1_
                                        ; -- End function
	.section	.AMDGPU.csdata,"",@progbits
; Kernel info:
; codeLenInByte = 1736
; NumSgprs: 34
; NumVgprs: 44
; NumAgprs: 0
; TotalNumVgprs: 44
; ScratchSize: 0
; MemoryBound: 0
; FloatMode: 240
; IeeeMode: 1
; LDSByteSize: 0 bytes/workgroup (compile time only)
; SGPRBlocks: 4
; VGPRBlocks: 5
; NumSGPRsForWavesPerEU: 34
; NumVGPRsForWavesPerEU: 44
; AccumOffset: 44
; Occupancy: 8
; WaveLimiterHint : 0
; COMPUTE_PGM_RSRC2:SCRATCH_EN: 0
; COMPUTE_PGM_RSRC2:USER_SGPR: 6
; COMPUTE_PGM_RSRC2:TRAP_HANDLER: 0
; COMPUTE_PGM_RSRC2:TGID_X_EN: 1
; COMPUTE_PGM_RSRC2:TGID_Y_EN: 0
; COMPUTE_PGM_RSRC2:TGID_Z_EN: 0
; COMPUTE_PGM_RSRC2:TIDIG_COMP_CNT: 0
; COMPUTE_PGM_RSRC3_GFX90A:ACCUM_OFFSET: 10
; COMPUTE_PGM_RSRC3_GFX90A:TG_SPLIT: 0
	.section	.text._ZN2at6native12_GLOBAL__N_125multi_tensor_apply_kernelINS1_28TensorListScalarListMetadataIN3c107complexIdEELi3EEENS1_26TernaryOpScalarListFunctorIS6_Li3ELi2ELi2EEEJNS0_11LerpFunctorIS6_EEEEEvT_T0_DpT1_,"axG",@progbits,_ZN2at6native12_GLOBAL__N_125multi_tensor_apply_kernelINS1_28TensorListScalarListMetadataIN3c107complexIdEELi3EEENS1_26TernaryOpScalarListFunctorIS6_Li3ELi2ELi2EEEJNS0_11LerpFunctorIS6_EEEEEvT_T0_DpT1_,comdat
	.globl	_ZN2at6native12_GLOBAL__N_125multi_tensor_apply_kernelINS1_28TensorListScalarListMetadataIN3c107complexIdEELi3EEENS1_26TernaryOpScalarListFunctorIS6_Li3ELi2ELi2EEEJNS0_11LerpFunctorIS6_EEEEEvT_T0_DpT1_ ; -- Begin function _ZN2at6native12_GLOBAL__N_125multi_tensor_apply_kernelINS1_28TensorListScalarListMetadataIN3c107complexIdEELi3EEENS1_26TernaryOpScalarListFunctorIS6_Li3ELi2ELi2EEEJNS0_11LerpFunctorIS6_EEEEEvT_T0_DpT1_
	.p2align	8
	.type	_ZN2at6native12_GLOBAL__N_125multi_tensor_apply_kernelINS1_28TensorListScalarListMetadataIN3c107complexIdEELi3EEENS1_26TernaryOpScalarListFunctorIS6_Li3ELi2ELi2EEEJNS0_11LerpFunctorIS6_EEEEEvT_T0_DpT1_,@function
_ZN2at6native12_GLOBAL__N_125multi_tensor_apply_kernelINS1_28TensorListScalarListMetadataIN3c107complexIdEELi3EEENS1_26TernaryOpScalarListFunctorIS6_Li3ELi2ELi2EEEJNS0_11LerpFunctorIS6_EEEEEvT_T0_DpT1_: ; @_ZN2at6native12_GLOBAL__N_125multi_tensor_apply_kernelINS1_28TensorListScalarListMetadataIN3c107complexIdEELi3EEENS1_26TernaryOpScalarListFunctorIS6_Li3ELi2ELi2EEEJNS0_11LerpFunctorIS6_EEEEEvT_T0_DpT1_
; %bb.0:
	v_mov_b32_e32 v1, s6
	global_load_ubyte v1, v1, s[4:5] offset:2304
	s_add_u32 s0, s4, s6
	s_mul_i32 s1, s6, 3
	s_addc_u32 s2, s5, 0
	s_mul_hi_u32 s3, s6, 3
	s_add_u32 s0, s0, s1
	s_addc_u32 s1, s2, s3
	s_load_dword s0, s[0:1], 0xa40
	s_mov_b32 s21, 0
	s_waitcnt lgkmcnt(0)
	s_ashr_i32 s1, s0, 31
	s_waitcnt vmcnt(0)
	v_readfirstlane_b32 s2, v1
	s_lshl_b32 s12, s2, 3
	s_add_u32 s2, s4, s12
	s_load_dwordx2 s[6:7], s[4:5], s12 offset:0x0
	s_load_dwordx2 s[8:9], s[4:5], s12 offset:0x180
	;; [unrolled: 1-line block ×4, first 2 shown]
	s_addc_u32 s3, s5, 0
	s_lshl_b64 s[16:17], s[0:1], 20
	s_waitcnt lgkmcnt(0)
	s_add_u32 s30, s6, s16
	s_addc_u32 s31, s7, s17
	s_add_u32 s33, s8, s16
	s_addc_u32 s34, s9, s17
	s_add_u32 s35, s10, s16
	s_load_dwordx4 s[12:15], s[2:3], s12 offset:0x600
	s_addc_u32 s36, s11, s17
	s_or_b32 s2, s35, s33
	s_lshl_b64 s[0:1], s[0:1], 16
	s_and_b32 s20, s30, 63
	s_and_b32 s2, s2, 63
	s_cmp_lg_u32 s2, 0
	s_cselect_b64 s[2:3], -1, 0
	s_sub_u32 s18, s22, s0
	s_subb_u32 s19, s23, s1
	s_and_b32 s0, s22, 3
	s_or_b32 s20, s20, s0
	s_cmp_lg_u64 s[20:21], 0
	s_cselect_b64 s[0:1], -1, 0
	s_or_b64 s[0:1], s[2:3], s[0:1]
	s_andn2_b64 vcc, exec, s[0:1]
	s_mov_b64 s[0:1], -1
	s_cbranch_vccz .LBB26_21
; %bb.1:
	v_mov_b32_e32 v35, 0
	v_lshlrev_b32_e32 v34, 2, v0
	v_cmp_gt_i64_e32 vcc, s[18:19], v[34:35]
	s_and_saveexec_b64 s[22:23], vcc
	s_cbranch_execz .LBB26_20
; %bb.2:
	s_load_dword s2, s[4:5], 0xf54
	s_waitcnt lgkmcnt(0)
	v_mul_f64 v[2:3], s[14:15], s[14:15]
	s_mov_b32 s0, 0
	v_fmac_f64_e64 v[2:3], s[12:13], s[12:13]
	s_mov_b32 s1, 0x3fd00000
	s_and_b32 s2, s2, 0xffff
	v_cmp_ngt_f64_e64 s[0:1], s[0:1], v[2:3]
	v_add_f64 v[36:37], -s[12:13], 1.0
	s_mov_b64 s[24:25], 0
	v_add_f64 v[38:39], -s[14:15], 0
	v_add_lshl_u32 v34, v0, s2, 2
	s_lshl_b32 s20, s2, 2
	v_lshlrev_b32_e32 v40, 6, v0
	s_lshl_b32 s37, s2, 6
	s_mov_b64 s[26:27], 0xffff
	s_branch .LBB26_4
.LBB26_3:                               ;   in Loop: Header=BB26_4 Depth=1
	v_mov_b32_e32 v1, s36
	v_add_co_u32_e32 v2, vcc, s35, v40
	v_addc_co_u32_e32 v3, vcc, 0, v1, vcc
	v_cmp_le_i64_e32 vcc, s[18:19], v[34:35]
	v_cmp_lt_u64_e64 s[2:3], s[26:27], v[34:35]
	s_or_b64 s[2:3], vcc, s[2:3]
	s_add_u32 s30, s30, s37
	s_addc_u32 s31, s31, 0
	s_add_u32 s35, s35, s37
	s_addc_u32 s36, s36, 0
	;; [unrolled: 2-line block ×3, first 2 shown]
	v_mov_b32_e32 v1, s21
	s_and_b64 s[2:3], exec, s[2:3]
	v_add_co_u32_e32 v34, vcc, s20, v34
	s_or_b64 s[24:25], s[2:3], s[24:25]
	v_addc_co_u32_e32 v35, vcc, v35, v1, vcc
	global_store_dwordx4 v[2:3], v[6:9], off
	global_store_dwordx4 v[2:3], v[18:21], off offset:16
	global_store_dwordx4 v[2:3], v[22:25], off offset:32
	global_store_dwordx4 v[2:3], v[10:13], off offset:48
	s_andn2_b64 exec, exec, s[24:25]
	s_cbranch_execz .LBB26_20
.LBB26_4:                               ; =>This Inner Loop Header: Depth=1
	v_mov_b32_e32 v1, s31
	v_add_co_u32_e32 v42, vcc, s30, v40
	v_addc_co_u32_e32 v43, vcc, 0, v1, vcc
	global_load_dwordx4 v[26:29], v[42:43], off offset:16
	global_load_dwordx4 v[30:33], v[42:43], off
	v_mov_b32_e32 v1, s34
	v_add_co_u32_e32 v44, vcc, s33, v40
	v_addc_co_u32_e32 v45, vcc, 0, v1, vcc
	global_load_dwordx4 v[18:21], v[44:45], off offset:16
	global_load_dwordx4 v[6:9], v[44:45], off
	global_load_dwordx4 v[2:5], v[42:43], off offset:48
	global_load_dwordx4 v[14:17], v[42:43], off offset:32
	;; [unrolled: 1-line block ×4, first 2 shown]
	s_and_b64 vcc, exec, s[0:1]
	s_waitcnt vmcnt(4)
	v_add_f64 v[42:43], v[6:7], -v[30:31]
	v_add_f64 v[44:45], v[8:9], -v[32:33]
	s_cbranch_vccz .LBB26_6
; %bb.5:                                ;   in Loop: Header=BB26_4 Depth=1
	v_mul_f64 v[46:47], v[38:39], v[44:45]
	v_mul_f64 v[48:49], v[36:37], v[44:45]
	v_fma_f64 v[46:47], v[36:37], v[42:43], -v[46:47]
	v_fmac_f64_e32 v[48:49], v[38:39], v[42:43]
	v_add_f64 v[6:7], v[6:7], -v[46:47]
	v_add_f64 v[8:9], v[8:9], -v[48:49]
	s_cbranch_execz .LBB26_7
	s_branch .LBB26_8
.LBB26_6:                               ;   in Loop: Header=BB26_4 Depth=1
                                        ; implicit-def: $vgpr8_vgpr9
.LBB26_7:                               ;   in Loop: Header=BB26_4 Depth=1
	v_mul_f64 v[6:7], s[14:15], v[44:45]
	v_mul_f64 v[8:9], s[12:13], v[44:45]
	v_fma_f64 v[6:7], s[12:13], v[42:43], -v[6:7]
	v_fmac_f64_e32 v[8:9], s[14:15], v[42:43]
	v_add_f64 v[6:7], v[30:31], v[6:7]
	v_add_f64 v[8:9], v[32:33], v[8:9]
.LBB26_8:                               ;   in Loop: Header=BB26_4 Depth=1
	v_cndmask_b32_e64 v1, 0, 1, s[0:1]
	v_add_f64 v[30:31], v[18:19], -v[26:27]
	v_cmp_ne_u32_e64 s[2:3], 1, v1
	s_andn2_b64 vcc, exec, s[0:1]
	v_add_f64 v[32:33], v[20:21], -v[28:29]
	s_cbranch_vccnz .LBB26_10
; %bb.9:                                ;   in Loop: Header=BB26_4 Depth=1
	v_mul_f64 v[42:43], v[38:39], v[32:33]
	v_mul_f64 v[44:45], v[36:37], v[32:33]
	v_fma_f64 v[42:43], v[36:37], v[30:31], -v[42:43]
	v_fmac_f64_e32 v[44:45], v[38:39], v[30:31]
	v_add_f64 v[18:19], v[18:19], -v[42:43]
	v_add_f64 v[20:21], v[20:21], -v[44:45]
	s_cbranch_execz .LBB26_11
	s_branch .LBB26_12
.LBB26_10:                              ;   in Loop: Header=BB26_4 Depth=1
                                        ; implicit-def: $vgpr20_vgpr21
.LBB26_11:                              ;   in Loop: Header=BB26_4 Depth=1
	v_mul_f64 v[18:19], s[14:15], v[32:33]
	v_mul_f64 v[20:21], s[12:13], v[32:33]
	v_fma_f64 v[18:19], s[12:13], v[30:31], -v[18:19]
	v_fmac_f64_e32 v[20:21], s[14:15], v[30:31]
	v_add_f64 v[18:19], v[26:27], v[18:19]
	v_add_f64 v[20:21], v[28:29], v[20:21]
.LBB26_12:                              ;   in Loop: Header=BB26_4 Depth=1
	s_waitcnt vmcnt(0)
	v_add_f64 v[26:27], v[22:23], -v[14:15]
	s_and_b64 vcc, exec, s[2:3]
	v_add_f64 v[28:29], v[24:25], -v[16:17]
	s_cbranch_vccnz .LBB26_14
; %bb.13:                               ;   in Loop: Header=BB26_4 Depth=1
	v_mul_f64 v[30:31], v[38:39], v[28:29]
	v_mul_f64 v[32:33], v[36:37], v[28:29]
	v_fma_f64 v[30:31], v[36:37], v[26:27], -v[30:31]
	v_fmac_f64_e32 v[32:33], v[38:39], v[26:27]
	v_add_f64 v[22:23], v[22:23], -v[30:31]
	v_add_f64 v[24:25], v[24:25], -v[32:33]
	s_cbranch_execz .LBB26_15
	s_branch .LBB26_16
.LBB26_14:                              ;   in Loop: Header=BB26_4 Depth=1
                                        ; implicit-def: $vgpr24_vgpr25
.LBB26_15:                              ;   in Loop: Header=BB26_4 Depth=1
	v_mul_f64 v[22:23], s[14:15], v[28:29]
	v_mul_f64 v[24:25], s[12:13], v[28:29]
	v_fma_f64 v[22:23], s[12:13], v[26:27], -v[22:23]
	v_fmac_f64_e32 v[24:25], s[14:15], v[26:27]
	v_add_f64 v[22:23], v[14:15], v[22:23]
	v_add_f64 v[24:25], v[16:17], v[24:25]
.LBB26_16:                              ;   in Loop: Header=BB26_4 Depth=1
	v_add_f64 v[14:15], v[10:11], -v[2:3]
	s_and_b64 vcc, exec, s[2:3]
	v_add_f64 v[16:17], v[12:13], -v[4:5]
	s_cbranch_vccnz .LBB26_18
; %bb.17:                               ;   in Loop: Header=BB26_4 Depth=1
	v_mul_f64 v[26:27], v[38:39], v[16:17]
	v_mul_f64 v[28:29], v[36:37], v[16:17]
	v_fma_f64 v[26:27], v[36:37], v[14:15], -v[26:27]
	v_fmac_f64_e32 v[28:29], v[38:39], v[14:15]
	v_add_f64 v[10:11], v[10:11], -v[26:27]
	v_add_f64 v[12:13], v[12:13], -v[28:29]
	s_cbranch_execnz .LBB26_3
	s_branch .LBB26_19
.LBB26_18:                              ;   in Loop: Header=BB26_4 Depth=1
                                        ; implicit-def: $vgpr12_vgpr13
.LBB26_19:                              ;   in Loop: Header=BB26_4 Depth=1
	v_mul_f64 v[10:11], s[14:15], v[16:17]
	v_mul_f64 v[12:13], s[12:13], v[16:17]
	v_fma_f64 v[10:11], s[12:13], v[14:15], -v[10:11]
	v_fmac_f64_e32 v[12:13], s[14:15], v[14:15]
	v_add_f64 v[10:11], v[2:3], v[10:11]
	v_add_f64 v[12:13], v[4:5], v[12:13]
	s_branch .LBB26_3
.LBB26_20:
	s_or_b64 exec, exec, s[22:23]
	s_mov_b64 s[0:1], 0
.LBB26_21:
	s_andn2_b64 vcc, exec, s[0:1]
	s_cbranch_vccnz .LBB26_57
; %bb.22:
	v_cmp_lt_i64_e64 s[0:1], s[18:19], 1
	s_and_b64 vcc, exec, s[0:1]
	s_cbranch_vccnz .LBB26_57
; %bb.23:
	s_load_dword s0, s[4:5], 0xf54
	v_mov_b32_e32 v2, 0x10000
	v_mov_b32_e32 v3, 0
	v_cmp_lt_u64_e32 vcc, s[18:19], v[2:3]
	s_waitcnt lgkmcnt(0)
	v_mul_f64 v[2:3], s[14:15], s[14:15]
	s_and_b32 s29, s0, 0xffff
	s_and_b64 s[0:1], vcc, exec
	s_mov_b32 s0, 0
	v_fmac_f64_e64 v[2:3], s[12:13], s[12:13]
	s_mov_b32 s1, 0x3fd00000
	v_lshlrev_b32_e32 v4, 4, v0
	v_cmp_ngt_f64_e64 s[0:1], s[0:1], v[2:3]
	v_or_b32_e32 v2, 8, v4
	v_mov_b32_e32 v5, s9
	v_add_co_u32_e32 v38, vcc, s8, v2
	v_addc_co_u32_e32 v39, vcc, 0, v5, vcc
	v_mov_b32_e32 v6, s7
	v_add_co_u32_e32 v40, vcc, s6, v2
	v_addc_co_u32_e32 v41, vcc, 0, v6, vcc
	v_add_lshl_u32 v7, v0, s29, 4
	v_mov_b32_e32 v8, s11
	v_add_co_u32_e32 v42, vcc, s10, v7
	v_addc_co_u32_e32 v43, vcc, 0, v8, vcc
	v_add_co_u32_e32 v44, vcc, s10, v2
	v_mov_b32_e32 v1, 0
	v_addc_co_u32_e32 v45, vcc, 0, v8, vcc
	v_mov_b32_e32 v3, v1
	v_add_co_u32_e32 v46, vcc, s6, v7
	v_addc_co_u32_e32 v47, vcc, 0, v6, vcc
	v_mad_u64_u32 v[2:3], s[2:3], s29, 48, v[2:3]
	v_add_co_u32_e32 v48, vcc, s8, v2
	v_addc_co_u32_e32 v49, vcc, v5, v3, vcc
	v_add_co_u32_e32 v50, vcc, s8, v7
	v_addc_co_u32_e32 v51, vcc, 0, v5, vcc
	;; [unrolled: 2-line block ×3, first 2 shown]
	v_add_co_u32_e32 v54, vcc, s10, v2
	s_cselect_b32 s21, s19, 0
	s_cselect_b32 s20, s18, 0x10000
	v_addc_co_u32_e32 v55, vcc, v8, v3, vcc
	s_lshl_b32 s2, s29, 5
	v_add_co_u32_e32 v2, vcc, s2, v4
	v_addc_co_u32_e64 v3, s[2:3], 0, 0, vcc
	v_add_co_u32_e32 v56, vcc, s10, v2
	v_addc_co_u32_e32 v57, vcc, v8, v3, vcc
	v_or_b32_e32 v2, 8, v2
	v_add_co_u32_e32 v58, vcc, s8, v2
	s_mov_b32 s28, 0
	v_addc_co_u32_e32 v59, vcc, v5, v3, vcc
	s_lshl_b32 s22, s29, 2
	s_mov_b32 s23, s28
	v_add_co_u32_e32 v60, vcc, s6, v2
	s_lshl_b32 s30, s29, 1
	s_mov_b32 s31, s28
	s_mul_i32 s33, s29, 3
	s_mov_b32 s34, s28
	v_add_f64 v[34:35], -s[12:13], 1.0
	v_add_f64 v[36:37], -s[14:15], 0
	s_lshl_b32 s35, s29, 6
	s_mov_b32 s36, s28
	v_addc_co_u32_e32 v61, vcc, v6, v3, vcc
	s_mov_b64 s[24:25], s[22:23]
	s_branch .LBB26_25
.LBB26_24:                              ;   in Loop: Header=BB26_25 Depth=1
	s_or_b64 exec, exec, s[2:3]
	v_pk_mov_b32 v[2:3], s[18:19], s[18:19] op_sel:[0,1]
	v_cmp_ge_i64_e32 vcc, s[24:25], v[2:3]
	v_mov_b32_e32 v2, 0xffff
	v_mov_b32_e32 v3, 0
	v_cmp_gt_u64_e64 s[2:3], s[24:25], v[2:3]
	s_or_b64 s[2:3], vcc, s[2:3]
	v_mov_b32_e32 v2, s23
	v_add_co_u32_e32 v0, vcc, s22, v0
	v_addc_co_u32_e32 v1, vcc, v1, v2, vcc
	v_mov_b32_e32 v2, s36
	v_add_co_u32_e32 v38, vcc, s35, v38
	v_addc_co_u32_e32 v39, vcc, v39, v2, vcc
	v_add_co_u32_e32 v40, vcc, s35, v40
	v_addc_co_u32_e32 v41, vcc, v41, v2, vcc
	v_add_co_u32_e32 v42, vcc, s35, v42
	v_addc_co_u32_e32 v43, vcc, v43, v2, vcc
	v_add_co_u32_e32 v44, vcc, s35, v44
	v_addc_co_u32_e32 v45, vcc, v45, v2, vcc
	v_add_co_u32_e32 v46, vcc, s35, v46
	v_addc_co_u32_e32 v47, vcc, v47, v2, vcc
	v_add_co_u32_e32 v48, vcc, s35, v48
	v_addc_co_u32_e32 v49, vcc, v49, v2, vcc
	v_add_co_u32_e32 v50, vcc, s35, v50
	v_addc_co_u32_e32 v51, vcc, v51, v2, vcc
	v_add_co_u32_e32 v52, vcc, s35, v52
	v_addc_co_u32_e32 v53, vcc, v53, v2, vcc
	v_add_co_u32_e32 v54, vcc, s35, v54
	v_addc_co_u32_e32 v55, vcc, v55, v2, vcc
	v_add_co_u32_e32 v56, vcc, s35, v56
	v_addc_co_u32_e32 v57, vcc, v57, v2, vcc
	v_add_co_u32_e32 v58, vcc, s35, v58
	v_addc_co_u32_e32 v59, vcc, v59, v2, vcc
	v_add_co_u32_e32 v60, vcc, s35, v60
	s_add_u32 s24, s24, s22
	v_addc_co_u32_e32 v61, vcc, v61, v2, vcc
	s_addc_u32 s25, s25, 0
	s_and_b64 vcc, exec, s[2:3]
	s_cbranch_vccnz .LBB26_57
.LBB26_25:                              ; =>This Inner Loop Header: Depth=1
	v_pk_mov_b32 v[4:5], 0, 0
	v_cmp_gt_u64_e64 s[2:3], s[20:21], v[0:1]
	v_pk_mov_b32 v[24:25], v[4:5], v[4:5] op_sel:[0,1]
	v_pk_mov_b32 v[22:23], v[4:5], v[4:5] op_sel:[0,1]
	;; [unrolled: 1-line block ×4, first 2 shown]
	s_and_saveexec_b64 s[4:5], s[2:3]
	s_cbranch_execz .LBB26_27
; %bb.26:                               ;   in Loop: Header=BB26_25 Depth=1
	v_mov_b32_e32 v6, s17
	v_add_co_u32_e32 v2, vcc, s16, v38
	v_addc_co_u32_e32 v3, vcc, v39, v6, vcc
	v_add_co_u32_e32 v10, vcc, s16, v40
	v_addc_co_u32_e32 v11, vcc, v41, v6, vcc
	global_load_dwordx4 v[6:9], v[10:11], off offset:-8
	global_load_dwordx4 v[22:25], v[2:3], off offset:-8
.LBB26_27:                              ;   in Loop: Header=BB26_25 Depth=1
	s_or_b64 exec, exec, s[4:5]
	v_mov_b32_e32 v3, s28
	v_add_co_u32_e32 v2, vcc, s29, v0
	v_addc_co_u32_e32 v3, vcc, v3, v1, vcc
	v_cmp_gt_u64_e64 s[4:5], s[20:21], v[2:3]
	v_pk_mov_b32 v[2:3], v[4:5], v[4:5] op_sel:[0,1]
	v_pk_mov_b32 v[12:13], v[4:5], v[4:5] op_sel:[0,1]
	;; [unrolled: 1-line block ×3, first 2 shown]
	s_and_saveexec_b64 s[6:7], s[4:5]
	s_cbranch_execz .LBB26_29
; %bb.28:                               ;   in Loop: Header=BB26_25 Depth=1
	v_mov_b32_e32 v2, s17
	v_add_co_u32_e32 v14, vcc, s16, v50
	v_addc_co_u32_e32 v15, vcc, v51, v2, vcc
	v_add_co_u32_e32 v16, vcc, s16, v46
	v_addc_co_u32_e32 v17, vcc, v47, v2, vcc
	global_load_dwordx4 v[10:13], v[16:17], off
	global_load_dwordx4 v[2:5], v[14:15], off
.LBB26_29:                              ;   in Loop: Header=BB26_25 Depth=1
	s_or_b64 exec, exec, s[6:7]
	v_mov_b32_e32 v15, s31
	v_add_co_u32_e32 v14, vcc, s30, v0
	v_addc_co_u32_e32 v15, vcc, v15, v1, vcc
	v_pk_mov_b32 v[16:17], 0, 0
	v_cmp_gt_u64_e64 s[6:7], s[20:21], v[14:15]
	v_pk_mov_b32 v[32:33], v[16:17], v[16:17] op_sel:[0,1]
	v_pk_mov_b32 v[30:31], v[16:17], v[16:17] op_sel:[0,1]
	;; [unrolled: 1-line block ×4, first 2 shown]
	s_and_saveexec_b64 s[8:9], s[6:7]
	s_cbranch_execz .LBB26_31
; %bb.30:                               ;   in Loop: Header=BB26_25 Depth=1
	v_mov_b32_e32 v18, s17
	v_add_co_u32_e32 v14, vcc, s16, v58
	v_addc_co_u32_e32 v15, vcc, v59, v18, vcc
	v_add_co_u32_e32 v26, vcc, s16, v60
	v_addc_co_u32_e32 v27, vcc, v61, v18, vcc
	global_load_dwordx4 v[18:21], v[26:27], off offset:-8
	global_load_dwordx4 v[30:33], v[14:15], off offset:-8
.LBB26_31:                              ;   in Loop: Header=BB26_25 Depth=1
	s_or_b64 exec, exec, s[8:9]
	v_mov_b32_e32 v15, s34
	v_add_co_u32_e32 v14, vcc, s33, v0
	v_addc_co_u32_e32 v15, vcc, v15, v1, vcc
	v_cmp_gt_u64_e64 s[8:9], s[20:21], v[14:15]
	v_pk_mov_b32 v[14:15], v[16:17], v[16:17] op_sel:[0,1]
	v_pk_mov_b32 v[28:29], v[16:17], v[16:17] op_sel:[0,1]
	;; [unrolled: 1-line block ×3, first 2 shown]
	s_and_saveexec_b64 s[10:11], s[8:9]
	s_cbranch_execz .LBB26_33
; %bb.32:                               ;   in Loop: Header=BB26_25 Depth=1
	v_mov_b32_e32 v14, s17
	v_add_co_u32_e32 v62, vcc, s16, v48
	v_addc_co_u32_e32 v63, vcc, v49, v14, vcc
	v_add_co_u32_e32 v64, vcc, s16, v52
	v_addc_co_u32_e32 v65, vcc, v53, v14, vcc
	global_load_dwordx4 v[26:29], v[64:65], off offset:-8
	global_load_dwordx4 v[14:17], v[62:63], off offset:-8
.LBB26_33:                              ;   in Loop: Header=BB26_25 Depth=1
	s_or_b64 exec, exec, s[10:11]
	s_waitcnt vmcnt(0)
	v_add_f64 v[64:65], v[22:23], -v[6:7]
	v_add_f64 v[62:63], v[24:25], -v[8:9]
	s_and_b64 vcc, exec, s[0:1]
	s_cbranch_vccz .LBB26_49
; %bb.34:                               ;   in Loop: Header=BB26_25 Depth=1
	v_mul_f64 v[66:67], v[36:37], v[62:63]
	v_mul_f64 v[68:69], v[36:37], v[64:65]
	v_fma_f64 v[66:67], v[34:35], v[64:65], -v[66:67]
	v_fmac_f64_e32 v[68:69], v[34:35], v[62:63]
	v_add_f64 v[22:23], v[22:23], -v[66:67]
	v_add_f64 v[24:25], v[24:25], -v[68:69]
	s_cbranch_execnz .LBB26_36
.LBB26_35:                              ;   in Loop: Header=BB26_25 Depth=1
	v_mul_f64 v[22:23], s[14:15], v[62:63]
	v_mul_f64 v[24:25], s[14:15], v[64:65]
	v_fma_f64 v[22:23], s[12:13], v[64:65], -v[22:23]
	v_fmac_f64_e32 v[24:25], s[12:13], v[62:63]
	v_add_f64 v[22:23], v[6:7], v[22:23]
	v_add_f64 v[24:25], v[8:9], v[24:25]
.LBB26_36:                              ;   in Loop: Header=BB26_25 Depth=1
	v_cndmask_b32_e64 v8, 0, 1, s[0:1]
	v_add_f64 v[6:7], v[2:3], -v[10:11]
	v_cmp_ne_u32_e64 s[10:11], 1, v8
	s_andn2_b64 vcc, exec, s[0:1]
	v_add_f64 v[8:9], v[4:5], -v[12:13]
	s_cbranch_vccnz .LBB26_50
; %bb.37:                               ;   in Loop: Header=BB26_25 Depth=1
	v_mul_f64 v[62:63], v[36:37], v[8:9]
	v_mul_f64 v[64:65], v[36:37], v[6:7]
	v_fma_f64 v[62:63], v[34:35], v[6:7], -v[62:63]
	v_fmac_f64_e32 v[64:65], v[34:35], v[8:9]
	v_add_f64 v[2:3], v[2:3], -v[62:63]
	v_add_f64 v[4:5], v[4:5], -v[64:65]
	s_cbranch_execnz .LBB26_39
.LBB26_38:                              ;   in Loop: Header=BB26_25 Depth=1
	v_mul_f64 v[2:3], s[14:15], v[8:9]
	v_mul_f64 v[4:5], s[14:15], v[6:7]
	v_fma_f64 v[2:3], s[12:13], v[6:7], -v[2:3]
	v_fmac_f64_e32 v[4:5], s[12:13], v[8:9]
	v_add_f64 v[2:3], v[10:11], v[2:3]
	v_add_f64 v[4:5], v[12:13], v[4:5]
.LBB26_39:                              ;   in Loop: Header=BB26_25 Depth=1
	v_add_f64 v[10:11], v[30:31], -v[18:19]
	s_and_b64 vcc, exec, s[10:11]
	v_add_f64 v[12:13], v[32:33], -v[20:21]
	s_cbranch_vccnz .LBB26_51
; %bb.40:                               ;   in Loop: Header=BB26_25 Depth=1
	v_mul_f64 v[6:7], v[36:37], v[12:13]
	v_mul_f64 v[8:9], v[36:37], v[10:11]
	v_fma_f64 v[6:7], v[34:35], v[10:11], -v[6:7]
	v_fmac_f64_e32 v[8:9], v[34:35], v[12:13]
	v_add_f64 v[6:7], v[30:31], -v[6:7]
	v_add_f64 v[8:9], v[32:33], -v[8:9]
	s_cbranch_execnz .LBB26_42
.LBB26_41:                              ;   in Loop: Header=BB26_25 Depth=1
	v_mul_f64 v[6:7], s[14:15], v[12:13]
	v_mul_f64 v[8:9], s[14:15], v[10:11]
	v_fma_f64 v[6:7], s[12:13], v[10:11], -v[6:7]
	v_fmac_f64_e32 v[8:9], s[12:13], v[12:13]
	v_add_f64 v[6:7], v[18:19], v[6:7]
	v_add_f64 v[8:9], v[20:21], v[8:9]
.LBB26_42:                              ;   in Loop: Header=BB26_25 Depth=1
	v_add_f64 v[18:19], v[14:15], -v[26:27]
	s_and_b64 vcc, exec, s[10:11]
	v_add_f64 v[20:21], v[16:17], -v[28:29]
	s_cbranch_vccnz .LBB26_52
; %bb.43:                               ;   in Loop: Header=BB26_25 Depth=1
	v_mul_f64 v[10:11], v[36:37], v[20:21]
	v_mul_f64 v[12:13], v[36:37], v[18:19]
	v_fma_f64 v[10:11], v[34:35], v[18:19], -v[10:11]
	v_fmac_f64_e32 v[12:13], v[34:35], v[20:21]
	v_add_f64 v[10:11], v[14:15], -v[10:11]
	v_add_f64 v[12:13], v[16:17], -v[12:13]
	s_cbranch_execnz .LBB26_45
.LBB26_44:                              ;   in Loop: Header=BB26_25 Depth=1
	v_mul_f64 v[10:11], s[14:15], v[20:21]
	v_mul_f64 v[12:13], s[14:15], v[18:19]
	v_fma_f64 v[10:11], s[12:13], v[18:19], -v[10:11]
	v_fmac_f64_e32 v[12:13], s[12:13], v[20:21]
	v_add_f64 v[10:11], v[26:27], v[10:11]
	v_add_f64 v[12:13], v[28:29], v[12:13]
.LBB26_45:                              ;   in Loop: Header=BB26_25 Depth=1
	s_and_saveexec_b64 s[10:11], s[2:3]
	s_xor_b64 s[2:3], exec, s[10:11]
	s_cbranch_execnz .LBB26_53
; %bb.46:                               ;   in Loop: Header=BB26_25 Depth=1
	s_or_b64 exec, exec, s[2:3]
	s_and_saveexec_b64 s[2:3], s[4:5]
	s_cbranch_execnz .LBB26_54
.LBB26_47:                              ;   in Loop: Header=BB26_25 Depth=1
	s_or_b64 exec, exec, s[2:3]
	s_and_saveexec_b64 s[2:3], s[6:7]
	s_cbranch_execnz .LBB26_55
.LBB26_48:                              ;   in Loop: Header=BB26_25 Depth=1
	s_or_b64 exec, exec, s[2:3]
	s_and_saveexec_b64 s[2:3], s[8:9]
	s_cbranch_execz .LBB26_24
	s_branch .LBB26_56
.LBB26_49:                              ;   in Loop: Header=BB26_25 Depth=1
                                        ; implicit-def: $vgpr24_vgpr25
	s_branch .LBB26_35
.LBB26_50:                              ;   in Loop: Header=BB26_25 Depth=1
                                        ; implicit-def: $vgpr4_vgpr5
	s_branch .LBB26_38
.LBB26_51:                              ;   in Loop: Header=BB26_25 Depth=1
                                        ; implicit-def: $vgpr8_vgpr9
	s_branch .LBB26_41
.LBB26_52:                              ;   in Loop: Header=BB26_25 Depth=1
                                        ; implicit-def: $vgpr12_vgpr13
	s_branch .LBB26_44
.LBB26_53:                              ;   in Loop: Header=BB26_25 Depth=1
	v_mov_b32_e32 v15, s17
	v_add_co_u32_e32 v14, vcc, s16, v44
	v_addc_co_u32_e32 v15, vcc, v45, v15, vcc
	global_store_dwordx4 v[14:15], v[22:25], off offset:-8
	s_or_b64 exec, exec, s[2:3]
	s_and_saveexec_b64 s[2:3], s[4:5]
	s_cbranch_execz .LBB26_47
.LBB26_54:                              ;   in Loop: Header=BB26_25 Depth=1
	v_mov_b32_e32 v15, s17
	v_add_co_u32_e32 v14, vcc, s16, v42
	v_addc_co_u32_e32 v15, vcc, v43, v15, vcc
	global_store_dwordx4 v[14:15], v[2:5], off
	s_or_b64 exec, exec, s[2:3]
	s_and_saveexec_b64 s[2:3], s[6:7]
	s_cbranch_execz .LBB26_48
.LBB26_55:                              ;   in Loop: Header=BB26_25 Depth=1
	v_mov_b32_e32 v3, s17
	v_add_co_u32_e32 v2, vcc, s16, v56
	v_addc_co_u32_e32 v3, vcc, v57, v3, vcc
	global_store_dwordx4 v[2:3], v[6:9], off
	s_or_b64 exec, exec, s[2:3]
	s_and_saveexec_b64 s[2:3], s[8:9]
	s_cbranch_execz .LBB26_24
.LBB26_56:                              ;   in Loop: Header=BB26_25 Depth=1
	v_mov_b32_e32 v3, s17
	v_add_co_u32_e32 v2, vcc, s16, v54
	v_addc_co_u32_e32 v3, vcc, v55, v3, vcc
	global_store_dwordx4 v[2:3], v[10:13], off offset:-8
	s_branch .LBB26_24
.LBB26_57:
	s_endpgm
	.section	.rodata,"a",@progbits
	.p2align	6, 0x0
	.amdhsa_kernel _ZN2at6native12_GLOBAL__N_125multi_tensor_apply_kernelINS1_28TensorListScalarListMetadataIN3c107complexIdEELi3EEENS1_26TernaryOpScalarListFunctorIS6_Li3ELi2ELi2EEEJNS0_11LerpFunctorIS6_EEEEEvT_T0_DpT1_
		.amdhsa_group_segment_fixed_size 0
		.amdhsa_private_segment_fixed_size 0
		.amdhsa_kernarg_size 4168
		.amdhsa_user_sgpr_count 6
		.amdhsa_user_sgpr_private_segment_buffer 1
		.amdhsa_user_sgpr_dispatch_ptr 0
		.amdhsa_user_sgpr_queue_ptr 0
		.amdhsa_user_sgpr_kernarg_segment_ptr 1
		.amdhsa_user_sgpr_dispatch_id 0
		.amdhsa_user_sgpr_flat_scratch_init 0
		.amdhsa_user_sgpr_kernarg_preload_length 0
		.amdhsa_user_sgpr_kernarg_preload_offset 0
		.amdhsa_user_sgpr_private_segment_size 0
		.amdhsa_uses_dynamic_stack 0
		.amdhsa_system_sgpr_private_segment_wavefront_offset 0
		.amdhsa_system_sgpr_workgroup_id_x 1
		.amdhsa_system_sgpr_workgroup_id_y 0
		.amdhsa_system_sgpr_workgroup_id_z 0
		.amdhsa_system_sgpr_workgroup_info 0
		.amdhsa_system_vgpr_workitem_id 0
		.amdhsa_next_free_vgpr 70
		.amdhsa_next_free_sgpr 38
		.amdhsa_accum_offset 72
		.amdhsa_reserve_vcc 1
		.amdhsa_reserve_flat_scratch 0
		.amdhsa_float_round_mode_32 0
		.amdhsa_float_round_mode_16_64 0
		.amdhsa_float_denorm_mode_32 3
		.amdhsa_float_denorm_mode_16_64 3
		.amdhsa_dx10_clamp 1
		.amdhsa_ieee_mode 1
		.amdhsa_fp16_overflow 0
		.amdhsa_tg_split 0
		.amdhsa_exception_fp_ieee_invalid_op 0
		.amdhsa_exception_fp_denorm_src 0
		.amdhsa_exception_fp_ieee_div_zero 0
		.amdhsa_exception_fp_ieee_overflow 0
		.amdhsa_exception_fp_ieee_underflow 0
		.amdhsa_exception_fp_ieee_inexact 0
		.amdhsa_exception_int_div_zero 0
	.end_amdhsa_kernel
	.section	.text._ZN2at6native12_GLOBAL__N_125multi_tensor_apply_kernelINS1_28TensorListScalarListMetadataIN3c107complexIdEELi3EEENS1_26TernaryOpScalarListFunctorIS6_Li3ELi2ELi2EEEJNS0_11LerpFunctorIS6_EEEEEvT_T0_DpT1_,"axG",@progbits,_ZN2at6native12_GLOBAL__N_125multi_tensor_apply_kernelINS1_28TensorListScalarListMetadataIN3c107complexIdEELi3EEENS1_26TernaryOpScalarListFunctorIS6_Li3ELi2ELi2EEEJNS0_11LerpFunctorIS6_EEEEEvT_T0_DpT1_,comdat
.Lfunc_end26:
	.size	_ZN2at6native12_GLOBAL__N_125multi_tensor_apply_kernelINS1_28TensorListScalarListMetadataIN3c107complexIdEELi3EEENS1_26TernaryOpScalarListFunctorIS6_Li3ELi2ELi2EEEJNS0_11LerpFunctorIS6_EEEEEvT_T0_DpT1_, .Lfunc_end26-_ZN2at6native12_GLOBAL__N_125multi_tensor_apply_kernelINS1_28TensorListScalarListMetadataIN3c107complexIdEELi3EEENS1_26TernaryOpScalarListFunctorIS6_Li3ELi2ELi2EEEJNS0_11LerpFunctorIS6_EEEEEvT_T0_DpT1_
                                        ; -- End function
	.section	.AMDGPU.csdata,"",@progbits
; Kernel info:
; codeLenInByte = 2620
; NumSgprs: 42
; NumVgprs: 70
; NumAgprs: 0
; TotalNumVgprs: 70
; ScratchSize: 0
; MemoryBound: 1
; FloatMode: 240
; IeeeMode: 1
; LDSByteSize: 0 bytes/workgroup (compile time only)
; SGPRBlocks: 5
; VGPRBlocks: 8
; NumSGPRsForWavesPerEU: 42
; NumVGPRsForWavesPerEU: 70
; AccumOffset: 72
; Occupancy: 7
; WaveLimiterHint : 0
; COMPUTE_PGM_RSRC2:SCRATCH_EN: 0
; COMPUTE_PGM_RSRC2:USER_SGPR: 6
; COMPUTE_PGM_RSRC2:TRAP_HANDLER: 0
; COMPUTE_PGM_RSRC2:TGID_X_EN: 1
; COMPUTE_PGM_RSRC2:TGID_Y_EN: 0
; COMPUTE_PGM_RSRC2:TGID_Z_EN: 0
; COMPUTE_PGM_RSRC2:TIDIG_COMP_CNT: 0
; COMPUTE_PGM_RSRC3_GFX90A:ACCUM_OFFSET: 17
; COMPUTE_PGM_RSRC3_GFX90A:TG_SPLIT: 0
	.section	.text._ZN2at6native12_GLOBAL__N_125multi_tensor_apply_kernelINS1_28TensorListScalarListMetadataIN3c107complexIfEELi3EEENS1_26TernaryOpScalarListFunctorIS6_Li3ELi2ELi2EEEJNS0_11LerpFunctorIS6_EEEEEvT_T0_DpT1_,"axG",@progbits,_ZN2at6native12_GLOBAL__N_125multi_tensor_apply_kernelINS1_28TensorListScalarListMetadataIN3c107complexIfEELi3EEENS1_26TernaryOpScalarListFunctorIS6_Li3ELi2ELi2EEEJNS0_11LerpFunctorIS6_EEEEEvT_T0_DpT1_,comdat
	.globl	_ZN2at6native12_GLOBAL__N_125multi_tensor_apply_kernelINS1_28TensorListScalarListMetadataIN3c107complexIfEELi3EEENS1_26TernaryOpScalarListFunctorIS6_Li3ELi2ELi2EEEJNS0_11LerpFunctorIS6_EEEEEvT_T0_DpT1_ ; -- Begin function _ZN2at6native12_GLOBAL__N_125multi_tensor_apply_kernelINS1_28TensorListScalarListMetadataIN3c107complexIfEELi3EEENS1_26TernaryOpScalarListFunctorIS6_Li3ELi2ELi2EEEJNS0_11LerpFunctorIS6_EEEEEvT_T0_DpT1_
	.p2align	8
	.type	_ZN2at6native12_GLOBAL__N_125multi_tensor_apply_kernelINS1_28TensorListScalarListMetadataIN3c107complexIfEELi3EEENS1_26TernaryOpScalarListFunctorIS6_Li3ELi2ELi2EEEJNS0_11LerpFunctorIS6_EEEEEvT_T0_DpT1_,@function
_ZN2at6native12_GLOBAL__N_125multi_tensor_apply_kernelINS1_28TensorListScalarListMetadataIN3c107complexIfEELi3EEENS1_26TernaryOpScalarListFunctorIS6_Li3ELi2ELi2EEEJNS0_11LerpFunctorIS6_EEEEEvT_T0_DpT1_: ; @_ZN2at6native12_GLOBAL__N_125multi_tensor_apply_kernelINS1_28TensorListScalarListMetadataIN3c107complexIfEELi3EEENS1_26TernaryOpScalarListFunctorIS6_Li3ELi2ELi2EEEJNS0_11LerpFunctorIS6_EEEEEvT_T0_DpT1_
; %bb.0:
	v_mov_b32_e32 v1, s6
	global_load_ubyte v1, v1, s[4:5] offset:1920
	s_add_u32 s0, s4, s6
	s_mul_hi_u32 s3, s6, 3
	s_mul_i32 s6, s6, 3
	s_addc_u32 s7, s5, 0
	s_add_u32 s2, s0, s6
	s_addc_u32 s3, s7, s3
	s_load_dword s2, s[2:3], 0x8c0
	s_mov_b32 s1, 0
	s_mov_b32 s7, s1
	s_waitcnt lgkmcnt(0)
	s_ashr_i32 s3, s2, 31
	s_lshl_b64 s[14:15], s[2:3], 19
	s_waitcnt vmcnt(0)
	v_readfirstlane_b32 s0, v1
	s_lshl_b32 s0, s0, 3
	s_load_dwordx2 s[12:13], s[4:5], s0 offset:0x600
	s_load_dwordx2 s[22:23], s[4:5], s0 offset:0x0
	s_load_dwordx2 s[10:11], s[4:5], s0 offset:0x180
	s_load_dwordx2 s[18:19], s[4:5], s0 offset:0x480
	s_load_dwordx2 s[8:9], s[4:5], s0 offset:0x300
	s_waitcnt lgkmcnt(0)
	s_add_u32 s26, s22, s14
	s_addc_u32 s27, s23, s15
	s_add_u32 s28, s10, s14
	s_addc_u32 s29, s11, s15
	;; [unrolled: 2-line block ×3, first 2 shown]
	s_or_b32 s6, s30, s28
	s_lshl_b64 s[2:3], s[2:3], 16
	s_and_b32 s0, s26, 31
	s_and_b32 s6, s6, 31
	s_cmp_lg_u32 s6, 0
	s_cselect_b64 s[20:21], -1, 0
	s_sub_u32 s16, s18, s2
	s_subb_u32 s17, s19, s3
	s_and_b32 s6, s18, 3
	s_or_b64 s[0:1], s[0:1], s[6:7]
	s_cmp_lg_u64 s[0:1], 0
	s_cselect_b64 s[0:1], -1, 0
	s_or_b64 s[0:1], s[20:21], s[0:1]
	s_andn2_b64 vcc, exec, s[0:1]
	s_mov_b64 s[0:1], -1
	s_cbranch_vccz .LBB27_21
; %bb.1:
	v_mov_b32_e32 v19, 0
	v_lshlrev_b32_e32 v18, 2, v0
	v_cmp_gt_i64_e32 vcc, s[16:17], v[18:19]
	s_and_saveexec_b64 s[18:19], vcc
	s_cbranch_execz .LBB27_20
; %bb.2:
	s_load_dword s0, s[4:5], 0xdd4
	v_pk_mul_f32 v[2:3], s[12:13], s[12:13]
	v_add_f32_e32 v1, v2, v3
	s_mov_b32 s1, 0x3e800000
	v_mov_b32_e32 v18, 1.0
	s_waitcnt lgkmcnt(0)
	s_and_b32 s0, s0, 0xffff
	v_pk_add_f32 v[20:21], s[12:13], v[18:19] neg_lo:[1,0] neg_hi:[1,0]
	v_add_lshl_u32 v18, v0, s0, 2
	s_lshl_b32 s34, s0, 2
	s_lshl_b32 s35, s0, 5
	v_cmp_ngt_f32_e64 s[0:1], s1, v1
	v_cndmask_b32_e64 v1, 0, 1, s[0:1]
	s_mov_b32 s33, 0
	v_lshlrev_b32_e32 v22, 5, v0
	s_mov_b64 s[20:21], 0
	s_mov_b64 s[24:25], 0xffff
	v_cmp_ne_u32_e64 s[2:3], 1, v1
	s_branch .LBB27_4
.LBB27_3:                               ;   in Loop: Header=BB27_4 Depth=1
	v_mov_b32_e32 v1, s31
	v_add_co_u32_e32 v2, vcc, s30, v22
	v_addc_co_u32_e32 v3, vcc, 0, v1, vcc
	v_cmp_le_i64_e32 vcc, s[16:17], v[18:19]
	v_cmp_lt_u64_e64 s[6:7], s[24:25], v[18:19]
	s_or_b64 s[6:7], vcc, s[6:7]
	s_add_u32 s26, s26, s35
	s_addc_u32 s27, s27, 0
	s_add_u32 s30, s30, s35
	s_addc_u32 s31, s31, 0
	;; [unrolled: 2-line block ×3, first 2 shown]
	v_mov_b32_e32 v1, s33
	s_and_b64 s[6:7], exec, s[6:7]
	v_add_co_u32_e32 v18, vcc, s34, v18
	s_or_b64 s[20:21], s[6:7], s[20:21]
	v_addc_co_u32_e32 v19, vcc, v19, v1, vcc
	global_store_dwordx4 v[2:3], v[6:9], off
	global_store_dwordx4 v[2:3], v[10:13], off offset:16
	s_andn2_b64 exec, exec, s[20:21]
	s_cbranch_execz .LBB27_20
.LBB27_4:                               ; =>This Inner Loop Header: Depth=1
	v_mov_b32_e32 v1, s27
	v_add_co_u32_e32 v24, vcc, s26, v22
	v_addc_co_u32_e32 v25, vcc, 0, v1, vcc
	v_mov_b32_e32 v1, s29
	v_add_co_u32_e32 v26, vcc, s28, v22
	v_addc_co_u32_e32 v27, vcc, 0, v1, vcc
	global_load_dwordx4 v[14:17], v[24:25], off
	global_load_dwordx4 v[6:9], v[26:27], off
	global_load_dwordx4 v[2:5], v[24:25], off offset:16
	global_load_dwordx4 v[10:13], v[26:27], off offset:16
	s_and_b64 vcc, exec, s[0:1]
	s_waitcnt vmcnt(2)
	v_pk_add_f32 v[24:25], v[6:7], v[14:15] neg_lo:[0,1] neg_hi:[0,1]
	s_cbranch_vccz .LBB27_6
; %bb.5:                                ;   in Loop: Header=BB27_4 Depth=1
	v_pk_mul_f32 v[26:27], v[20:21], v[24:25] op_sel:[0,1]
	v_pk_fma_f32 v[28:29], v[20:21], v[24:25], v[26:27] op_sel:[0,0,1] op_sel_hi:[1,1,0] neg_lo:[0,0,1] neg_hi:[0,0,1]
	v_pk_fma_f32 v[26:27], v[20:21], v[24:25], v[26:27] op_sel:[0,0,1] op_sel_hi:[1,0,0]
	v_mov_b32_e32 v29, v27
	v_pk_add_f32 v[6:7], v[6:7], v[28:29] neg_lo:[0,1] neg_hi:[0,1]
	s_cbranch_execz .LBB27_7
	s_branch .LBB27_8
.LBB27_6:                               ;   in Loop: Header=BB27_4 Depth=1
                                        ; implicit-def: $vgpr6_vgpr7
.LBB27_7:                               ;   in Loop: Header=BB27_4 Depth=1
	v_pk_mul_f32 v[6:7], v[24:25], s[12:13] op_sel:[1,0]
	v_pk_fma_f32 v[26:27], v[24:25], s[12:13], v[6:7] op_sel:[0,0,1] op_sel_hi:[1,1,0] neg_lo:[0,0,1] neg_hi:[0,0,1]
	v_pk_fma_f32 v[6:7], v[24:25], s[12:13], v[6:7] op_sel:[0,0,1] op_sel_hi:[0,1,0]
	v_mov_b32_e32 v27, v7
	v_pk_add_f32 v[6:7], v[14:15], v[26:27]
.LBB27_8:                               ;   in Loop: Header=BB27_4 Depth=1
	s_and_b64 vcc, exec, s[2:3]
	v_pk_add_f32 v[14:15], v[8:9], v[16:17] neg_lo:[0,1] neg_hi:[0,1]
	s_cbranch_vccnz .LBB27_10
; %bb.9:                                ;   in Loop: Header=BB27_4 Depth=1
	v_pk_mul_f32 v[24:25], v[20:21], v[14:15] op_sel:[0,1]
	v_pk_fma_f32 v[26:27], v[20:21], v[14:15], v[24:25] op_sel:[0,0,1] op_sel_hi:[1,1,0] neg_lo:[0,0,1] neg_hi:[0,0,1]
	v_pk_fma_f32 v[24:25], v[20:21], v[14:15], v[24:25] op_sel:[0,0,1] op_sel_hi:[1,0,0]
	v_mov_b32_e32 v27, v25
	v_pk_add_f32 v[8:9], v[8:9], v[26:27] neg_lo:[0,1] neg_hi:[0,1]
	s_cbranch_execz .LBB27_11
	s_branch .LBB27_12
.LBB27_10:                              ;   in Loop: Header=BB27_4 Depth=1
.LBB27_11:                              ;   in Loop: Header=BB27_4 Depth=1
	v_pk_mul_f32 v[8:9], v[14:15], s[12:13] op_sel:[1,0]
	v_pk_fma_f32 v[24:25], v[14:15], s[12:13], v[8:9] op_sel:[0,0,1] op_sel_hi:[1,1,0] neg_lo:[0,0,1] neg_hi:[0,0,1]
	v_pk_fma_f32 v[8:9], v[14:15], s[12:13], v[8:9] op_sel:[0,0,1] op_sel_hi:[0,1,0]
	v_mov_b32_e32 v25, v9
	v_pk_add_f32 v[8:9], v[16:17], v[24:25]
.LBB27_12:                              ;   in Loop: Header=BB27_4 Depth=1
	s_and_b64 vcc, exec, s[2:3]
	s_waitcnt vmcnt(0)
	v_pk_add_f32 v[14:15], v[10:11], v[2:3] neg_lo:[0,1] neg_hi:[0,1]
	s_cbranch_vccnz .LBB27_14
; %bb.13:                               ;   in Loop: Header=BB27_4 Depth=1
	v_pk_mul_f32 v[16:17], v[20:21], v[14:15] op_sel:[0,1]
	v_pk_fma_f32 v[24:25], v[20:21], v[14:15], v[16:17] op_sel:[0,0,1] op_sel_hi:[1,1,0] neg_lo:[0,0,1] neg_hi:[0,0,1]
	v_pk_fma_f32 v[16:17], v[20:21], v[14:15], v[16:17] op_sel:[0,0,1] op_sel_hi:[1,0,0]
	v_mov_b32_e32 v25, v17
	v_pk_add_f32 v[10:11], v[10:11], v[24:25] neg_lo:[0,1] neg_hi:[0,1]
	s_cbranch_execz .LBB27_15
	s_branch .LBB27_16
.LBB27_14:                              ;   in Loop: Header=BB27_4 Depth=1
                                        ; implicit-def: $vgpr10_vgpr11
.LBB27_15:                              ;   in Loop: Header=BB27_4 Depth=1
	v_pk_mul_f32 v[10:11], v[14:15], s[12:13] op_sel:[1,0]
	v_pk_fma_f32 v[16:17], v[14:15], s[12:13], v[10:11] op_sel:[0,0,1] op_sel_hi:[1,1,0] neg_lo:[0,0,1] neg_hi:[0,0,1]
	v_pk_fma_f32 v[10:11], v[14:15], s[12:13], v[10:11] op_sel:[0,0,1] op_sel_hi:[0,1,0]
	v_mov_b32_e32 v17, v11
	v_pk_add_f32 v[10:11], v[2:3], v[16:17]
.LBB27_16:                              ;   in Loop: Header=BB27_4 Depth=1
	s_and_b64 vcc, exec, s[2:3]
	v_pk_add_f32 v[2:3], v[12:13], v[4:5] neg_lo:[0,1] neg_hi:[0,1]
	s_cbranch_vccnz .LBB27_18
; %bb.17:                               ;   in Loop: Header=BB27_4 Depth=1
	v_pk_mul_f32 v[14:15], v[20:21], v[2:3] op_sel:[0,1]
	v_pk_fma_f32 v[16:17], v[20:21], v[2:3], v[14:15] op_sel:[0,0,1] op_sel_hi:[1,1,0] neg_lo:[0,0,1] neg_hi:[0,0,1]
	v_pk_fma_f32 v[14:15], v[20:21], v[2:3], v[14:15] op_sel:[0,0,1] op_sel_hi:[1,0,0]
	v_mov_b32_e32 v17, v15
	v_pk_add_f32 v[12:13], v[12:13], v[16:17] neg_lo:[0,1] neg_hi:[0,1]
	s_cbranch_execnz .LBB27_3
	s_branch .LBB27_19
.LBB27_18:                              ;   in Loop: Header=BB27_4 Depth=1
.LBB27_19:                              ;   in Loop: Header=BB27_4 Depth=1
	v_pk_mul_f32 v[12:13], v[2:3], s[12:13] op_sel:[1,0]
	v_pk_fma_f32 v[14:15], v[2:3], s[12:13], v[12:13] op_sel:[0,0,1] op_sel_hi:[1,1,0] neg_lo:[0,0,1] neg_hi:[0,0,1]
	v_pk_fma_f32 v[2:3], v[2:3], s[12:13], v[12:13] op_sel:[0,0,1] op_sel_hi:[0,1,0]
	v_mov_b32_e32 v15, v3
	v_pk_add_f32 v[12:13], v[4:5], v[14:15]
	s_branch .LBB27_3
.LBB27_20:
	s_or_b64 exec, exec, s[18:19]
	s_mov_b64 s[0:1], 0
.LBB27_21:
	s_andn2_b64 vcc, exec, s[0:1]
	s_cbranch_vccnz .LBB27_57
; %bb.22:
	v_cmp_lt_i64_e64 s[0:1], s[16:17], 1
	s_and_b64 vcc, exec, s[0:1]
	s_cbranch_vccnz .LBB27_57
; %bb.23:
	s_load_dword s0, s[4:5], 0xdd4
	v_mov_b32_e32 v2, 0x10000
	v_mov_b32_e32 v3, 0
	v_cmp_lt_u64_e32 vcc, s[16:17], v[2:3]
	v_pk_mul_f32 v[2:3], s[12:13], s[12:13]
	s_waitcnt lgkmcnt(0)
	s_and_b32 s4, s0, 0xffff
	s_and_b64 s[0:1], vcc, exec
	v_lshlrev_b32_e32 v18, 3, v0
	v_add_f32_e32 v1, v2, v3
	s_mov_b32 s0, 0x3e800000
	v_mov_b32_e32 v23, s23
	v_add_co_u32_e32 v6, vcc, s22, v18
	v_cmp_ngt_f32_e64 s[0:1], s0, v1
	v_addc_co_u32_e32 v1, vcc, 0, v23, vcc
	v_mov_b32_e32 v25, s11
	v_add_co_u32_e32 v8, vcc, s10, v18
	v_addc_co_u32_e32 v7, vcc, 0, v25, vcc
	v_mov_b32_e32 v19, 0
	v_mov_b32_e32 v27, s9
	v_add_co_u32_e32 v10, vcc, s8, v18
	v_addc_co_u32_e32 v9, vcc, 0, v27, vcc
	v_mad_u64_u32 v[16:17], s[2:3], s4, 24, v[18:19]
	v_add_co_u32_e32 v12, vcc, s22, v16
	v_addc_co_u32_e32 v11, vcc, v23, v17, vcc
	v_add_co_u32_e32 v14, vcc, s10, v16
	v_addc_co_u32_e32 v13, vcc, v25, v17, vcc
	v_add_co_u32_e32 v16, vcc, s8, v16
	s_mul_i32 s6, s4, 3
	v_addc_co_u32_e32 v15, vcc, v27, v17, vcc
	v_add_co_u32_e32 v29, vcc, s6, v0
	v_addc_co_u32_e64 v50, s[2:3], 0, 0, vcc
	s_cselect_b32 s19, s17, 0
	s_cselect_b32 s18, s16, 0x10000
	s_lshl_b32 s2, s4, 4
	v_add_co_u32_e32 v21, vcc, s2, v18
	v_addc_co_u32_e64 v24, s[2:3], 0, 0, vcc
	v_add_co_u32_e32 v18, vcc, s22, v21
	v_addc_co_u32_e32 v17, vcc, v23, v24, vcc
	v_add_co_u32_e32 v20, vcc, s10, v21
	v_addc_co_u32_e32 v19, vcc, v25, v24, vcc
	v_add_co_u32_e32 v22, vcc, s8, v21
	s_lshl_b32 s5, s4, 1
	v_addc_co_u32_e32 v21, vcc, v27, v24, vcc
	v_add_co_u32_e32 v51, vcc, s5, v0
	v_addc_co_u32_e64 v52, s[2:3], 0, 0, vcc
	v_add_co_u32_e32 v53, vcc, s4, v0
	v_lshlrev_b32_e32 v28, 3, v53
	v_addc_co_u32_e64 v54, s[2:3], 0, 0, vcc
	v_add_co_u32_e32 v24, vcc, s22, v28
	v_addc_co_u32_e32 v23, vcc, 0, v23, vcc
	v_add_co_u32_e32 v26, vcc, s10, v28
	v_addc_co_u32_e32 v25, vcc, 0, v25, vcc
	v_sub_f32_e64 v2, 1.0, s12
	v_sub_f32_e64 v4, 0, s13
	v_add_co_u32_e32 v28, vcc, s8, v28
	s_mov_b32 s26, 0
	s_lshl_b32 s27, s4, 2
	s_mov_b32 s20, s12
	s_mov_b32 s21, s12
	v_mov_b32_e32 v3, v2
	v_mov_b32_e32 v5, v4
	s_mov_b32 s12, s13
	s_lshl_b32 s28, s4, 5
	v_addc_co_u32_e32 v27, vcc, 0, v27, vcc
	s_mov_b64 s[22:23], 0
	s_branch .LBB27_25
.LBB27_24:                              ;   in Loop: Header=BB27_25 Depth=1
	s_or_b64 exec, exec, s[2:3]
	s_add_u32 s22, s22, s27
	s_addc_u32 s23, s23, 0
	v_pk_mov_b32 v[30:31], s[16:17], s[16:17] op_sel:[0,1]
	v_cmp_ge_i64_e32 vcc, s[22:23], v[30:31]
	v_mov_b32_e32 v30, 0xffff
	v_mov_b32_e32 v31, 0
	v_cmp_gt_u64_e64 s[2:3], s[22:23], v[30:31]
	s_or_b64 s[2:3], vcc, s[2:3]
	v_mov_b32_e32 v30, s26
	v_add_co_u32_e32 v6, vcc, s28, v6
	v_addc_co_u32_e32 v1, vcc, v1, v30, vcc
	v_add_co_u32_e32 v8, vcc, s28, v8
	v_addc_co_u32_e32 v7, vcc, v7, v30, vcc
	v_add_co_u32_e32 v10, vcc, s28, v10
	v_addc_co_u32_e32 v9, vcc, v9, v30, vcc
	v_add_co_u32_e32 v12, vcc, s28, v12
	v_addc_co_u32_e32 v11, vcc, v11, v30, vcc
	v_add_co_u32_e32 v14, vcc, s28, v14
	v_addc_co_u32_e32 v13, vcc, v13, v30, vcc
	v_add_co_u32_e32 v16, vcc, s28, v16
	v_addc_co_u32_e32 v15, vcc, v15, v30, vcc
	v_add_co_u32_e32 v18, vcc, s28, v18
	v_addc_co_u32_e32 v17, vcc, v17, v30, vcc
	v_add_co_u32_e32 v20, vcc, s28, v20
	v_addc_co_u32_e32 v19, vcc, v19, v30, vcc
	v_add_co_u32_e32 v22, vcc, s28, v22
	v_addc_co_u32_e32 v21, vcc, v21, v30, vcc
	v_add_co_u32_e32 v24, vcc, s28, v24
	v_addc_co_u32_e32 v23, vcc, v23, v30, vcc
	v_add_co_u32_e32 v26, vcc, s28, v26
	v_addc_co_u32_e32 v25, vcc, v25, v30, vcc
	v_add_co_u32_e32 v28, vcc, s28, v28
	v_addc_co_u32_e32 v27, vcc, v27, v30, vcc
	s_and_b64 vcc, exec, s[2:3]
	s_cbranch_vccnz .LBB27_57
.LBB27_25:                              ; =>This Inner Loop Header: Depth=1
	v_mov_b32_e32 v31, s23
	v_add_co_u32_e32 v30, vcc, s22, v0
	v_addc_co_u32_e32 v31, vcc, 0, v31, vcc
	v_cmp_gt_u64_e64 s[2:3], s[18:19], v[30:31]
	v_mov_b32_e32 v34, 0
	v_mov_b32_e32 v35, 0
	;; [unrolled: 1-line block ×4, first 2 shown]
	s_and_saveexec_b64 s[4:5], s[2:3]
	s_cbranch_execz .LBB27_27
; %bb.26:                               ;   in Loop: Header=BB27_25 Depth=1
	v_mov_b32_e32 v33, s15
	v_add_co_u32_e32 v30, vcc, s14, v8
	v_addc_co_u32_e32 v31, vcc, v7, v33, vcc
	v_add_co_u32_e32 v32, vcc, s14, v6
	v_addc_co_u32_e32 v33, vcc, v1, v33, vcc
	global_load_dwordx2 v[34:35], v[32:33], off
	global_load_dwordx2 v[42:43], v[30:31], off
.LBB27_27:                              ;   in Loop: Header=BB27_25 Depth=1
	s_or_b64 exec, exec, s[4:5]
	v_mov_b32_e32 v31, s23
	v_add_co_u32_e32 v30, vcc, s22, v53
	v_addc_co_u32_e32 v31, vcc, v54, v31, vcc
	v_cmp_gt_u64_e64 s[4:5], s[18:19], v[30:31]
	v_mov_b32_e32 v30, 0
	v_mov_b32_e32 v32, 0
	;; [unrolled: 1-line block ×5, first 2 shown]
	s_and_saveexec_b64 s[6:7], s[4:5]
	s_cbranch_execz .LBB27_29
; %bb.28:                               ;   in Loop: Header=BB27_25 Depth=1
	v_mov_b32_e32 v31, s15
	v_add_co_u32_e32 v36, vcc, s14, v26
	v_addc_co_u32_e32 v37, vcc, v25, v31, vcc
	v_add_co_u32_e32 v40, vcc, s14, v24
	v_addc_co_u32_e32 v41, vcc, v23, v31, vcc
	global_load_dwordx2 v[32:33], v[40:41], off
	global_load_dwordx2 v[38:39], v[36:37], off
.LBB27_29:                              ;   in Loop: Header=BB27_25 Depth=1
	s_or_b64 exec, exec, s[6:7]
	v_mov_b32_e32 v31, s23
	v_add_co_u32_e32 v36, vcc, s22, v51
	v_addc_co_u32_e32 v37, vcc, v52, v31, vcc
	v_cmp_gt_u64_e64 s[6:7], s[18:19], v[36:37]
	v_mov_b32_e32 v31, 0
	v_mov_b32_e32 v40, 0
	;; [unrolled: 1-line block ×3, first 2 shown]
	s_and_saveexec_b64 s[8:9], s[6:7]
	s_cbranch_execz .LBB27_31
; %bb.30:                               ;   in Loop: Header=BB27_25 Depth=1
	v_mov_b32_e32 v30, s15
	v_add_co_u32_e32 v36, vcc, s14, v20
	v_addc_co_u32_e32 v37, vcc, v19, v30, vcc
	v_add_co_u32_e32 v44, vcc, s14, v18
	v_addc_co_u32_e32 v45, vcc, v17, v30, vcc
	global_load_dwordx2 v[30:31], v[44:45], off
	global_load_dwordx2 v[40:41], v[36:37], off
.LBB27_31:                              ;   in Loop: Header=BB27_25 Depth=1
	s_or_b64 exec, exec, s[8:9]
	v_mov_b32_e32 v37, s23
	v_add_co_u32_e32 v36, vcc, s22, v29
	v_addc_co_u32_e32 v37, vcc, v50, v37, vcc
	v_cmp_gt_u64_e64 s[8:9], s[18:19], v[36:37]
	v_mov_b32_e32 v36, 0
	v_mov_b32_e32 v37, v36
	v_mov_b32_e32 v44, v36
	v_mov_b32_e32 v45, v36
	s_and_saveexec_b64 s[10:11], s[8:9]
	s_cbranch_execz .LBB27_33
; %bb.32:                               ;   in Loop: Header=BB27_25 Depth=1
	v_mov_b32_e32 v36, s15
	v_add_co_u32_e32 v46, vcc, s14, v14
	v_addc_co_u32_e32 v47, vcc, v13, v36, vcc
	v_add_co_u32_e32 v48, vcc, s14, v12
	v_addc_co_u32_e32 v49, vcc, v11, v36, vcc
	global_load_dwordx2 v[36:37], v[48:49], off
	global_load_dwordx2 v[44:45], v[46:47], off
.LBB27_33:                              ;   in Loop: Header=BB27_25 Depth=1
	s_or_b64 exec, exec, s[10:11]
	s_waitcnt vmcnt(0)
	v_pk_add_f32 v[46:47], v[42:43], v[34:35] neg_lo:[0,1] neg_hi:[0,1]
	v_mov_b32_e32 v48, v47
	v_mov_b32_e32 v49, v46
	s_and_b64 vcc, exec, s[0:1]
	s_cbranch_vccz .LBB27_49
; %bb.34:                               ;   in Loop: Header=BB27_25 Depth=1
	v_pk_mul_f32 v[56:57], v[4:5], v[48:49]
	v_pk_fma_f32 v[58:59], v[2:3], v[46:47], v[56:57] neg_lo:[0,0,1] neg_hi:[0,0,1]
	v_pk_fma_f32 v[56:57], v[2:3], v[46:47], v[56:57]
	v_mov_b32_e32 v59, v57
	v_pk_add_f32 v[42:43], v[42:43], v[58:59] neg_lo:[0,1] neg_hi:[0,1]
	s_cbranch_execnz .LBB27_36
.LBB27_35:                              ;   in Loop: Header=BB27_25 Depth=1
	v_pk_mul_f32 v[42:43], v[48:49], s[12:13]
	v_pk_fma_f32 v[48:49], v[46:47], s[20:21], v[42:43] neg_lo:[0,0,1] neg_hi:[0,0,1]
	v_pk_fma_f32 v[42:43], v[46:47], s[20:21], v[42:43]
	v_mov_b32_e32 v49, v43
	v_pk_add_f32 v[42:43], v[34:35], v[48:49]
.LBB27_36:                              ;   in Loop: Header=BB27_25 Depth=1
	v_pk_add_f32 v[46:47], v[38:39], v[32:33] neg_lo:[0,1] neg_hi:[0,1]
	v_cndmask_b32_e64 v34, 0, 1, s[0:1]
	v_mov_b32_e32 v48, v47
	v_cmp_ne_u32_e64 s[10:11], 1, v34
	s_andn2_b64 vcc, exec, s[0:1]
	v_mov_b32_e32 v49, v46
	s_cbranch_vccnz .LBB27_50
; %bb.37:                               ;   in Loop: Header=BB27_25 Depth=1
	v_pk_mul_f32 v[34:35], v[4:5], v[48:49]
	v_pk_fma_f32 v[56:57], v[2:3], v[46:47], v[34:35] neg_lo:[0,0,1] neg_hi:[0,0,1]
	v_pk_fma_f32 v[34:35], v[2:3], v[46:47], v[34:35]
	v_mov_b32_e32 v57, v35
	v_pk_add_f32 v[34:35], v[38:39], v[56:57] neg_lo:[0,1] neg_hi:[0,1]
	s_cbranch_execnz .LBB27_39
.LBB27_38:                              ;   in Loop: Header=BB27_25 Depth=1
	v_pk_mul_f32 v[34:35], v[48:49], s[12:13]
	v_pk_fma_f32 v[38:39], v[46:47], s[20:21], v[34:35] neg_lo:[0,0,1] neg_hi:[0,0,1]
	v_pk_fma_f32 v[34:35], v[46:47], s[20:21], v[34:35]
	v_mov_b32_e32 v39, v35
	v_pk_add_f32 v[34:35], v[32:33], v[38:39]
.LBB27_39:                              ;   in Loop: Header=BB27_25 Depth=1
	v_pk_add_f32 v[38:39], v[40:41], v[30:31] neg_lo:[0,1] neg_hi:[0,1]
	v_mov_b32_e32 v46, v39
	s_and_b64 vcc, exec, s[10:11]
	v_mov_b32_e32 v47, v38
	s_cbranch_vccnz .LBB27_51
; %bb.40:                               ;   in Loop: Header=BB27_25 Depth=1
	v_pk_mul_f32 v[32:33], v[4:5], v[46:47]
	v_pk_fma_f32 v[48:49], v[2:3], v[38:39], v[32:33] neg_lo:[0,0,1] neg_hi:[0,0,1]
	v_pk_fma_f32 v[32:33], v[2:3], v[38:39], v[32:33]
	v_mov_b32_e32 v49, v33
	v_pk_add_f32 v[32:33], v[40:41], v[48:49] neg_lo:[0,1] neg_hi:[0,1]
	s_cbranch_execnz .LBB27_42
.LBB27_41:                              ;   in Loop: Header=BB27_25 Depth=1
	v_pk_mul_f32 v[32:33], v[46:47], s[12:13]
	v_pk_fma_f32 v[40:41], v[38:39], s[20:21], v[32:33] neg_lo:[0,0,1] neg_hi:[0,0,1]
	v_pk_fma_f32 v[32:33], v[38:39], s[20:21], v[32:33]
	v_mov_b32_e32 v41, v33
	v_pk_add_f32 v[32:33], v[30:31], v[40:41]
.LBB27_42:                              ;   in Loop: Header=BB27_25 Depth=1
	v_pk_add_f32 v[38:39], v[44:45], v[36:37] neg_lo:[0,1] neg_hi:[0,1]
	v_mov_b32_e32 v40, v39
	s_and_b64 vcc, exec, s[10:11]
	v_mov_b32_e32 v41, v38
	s_cbranch_vccnz .LBB27_52
; %bb.43:                               ;   in Loop: Header=BB27_25 Depth=1
	v_pk_mul_f32 v[30:31], v[4:5], v[40:41]
	v_pk_fma_f32 v[46:47], v[2:3], v[38:39], v[30:31] neg_lo:[0,0,1] neg_hi:[0,0,1]
	v_pk_fma_f32 v[30:31], v[2:3], v[38:39], v[30:31]
	v_mov_b32_e32 v47, v31
	v_pk_add_f32 v[30:31], v[44:45], v[46:47] neg_lo:[0,1] neg_hi:[0,1]
	s_cbranch_execnz .LBB27_45
.LBB27_44:                              ;   in Loop: Header=BB27_25 Depth=1
	v_pk_mul_f32 v[30:31], v[40:41], s[12:13]
	v_pk_fma_f32 v[40:41], v[38:39], s[20:21], v[30:31] neg_lo:[0,0,1] neg_hi:[0,0,1]
	v_pk_fma_f32 v[30:31], v[38:39], s[20:21], v[30:31]
	v_mov_b32_e32 v41, v31
	v_pk_add_f32 v[30:31], v[36:37], v[40:41]
.LBB27_45:                              ;   in Loop: Header=BB27_25 Depth=1
	s_and_saveexec_b64 s[10:11], s[2:3]
	s_xor_b64 s[2:3], exec, s[10:11]
	s_cbranch_execnz .LBB27_53
; %bb.46:                               ;   in Loop: Header=BB27_25 Depth=1
	s_or_b64 exec, exec, s[2:3]
	s_and_saveexec_b64 s[2:3], s[4:5]
	s_cbranch_execnz .LBB27_54
.LBB27_47:                              ;   in Loop: Header=BB27_25 Depth=1
	s_or_b64 exec, exec, s[2:3]
	s_and_saveexec_b64 s[2:3], s[6:7]
	s_cbranch_execnz .LBB27_55
.LBB27_48:                              ;   in Loop: Header=BB27_25 Depth=1
	s_or_b64 exec, exec, s[2:3]
	s_and_saveexec_b64 s[2:3], s[8:9]
	s_cbranch_execz .LBB27_24
	s_branch .LBB27_56
.LBB27_49:                              ;   in Loop: Header=BB27_25 Depth=1
                                        ; implicit-def: $vgpr42_vgpr43
	s_branch .LBB27_35
.LBB27_50:                              ;   in Loop: Header=BB27_25 Depth=1
                                        ; implicit-def: $vgpr34_vgpr35
	s_branch .LBB27_38
.LBB27_51:                              ;   in Loop: Header=BB27_25 Depth=1
                                        ; implicit-def: $vgpr32_vgpr33
	s_branch .LBB27_41
.LBB27_52:                              ;   in Loop: Header=BB27_25 Depth=1
                                        ; implicit-def: $vgpr30_vgpr31
	s_branch .LBB27_44
.LBB27_53:                              ;   in Loop: Header=BB27_25 Depth=1
	v_mov_b32_e32 v37, s15
	v_add_co_u32_e32 v36, vcc, s14, v10
	v_addc_co_u32_e32 v37, vcc, v9, v37, vcc
	global_store_dwordx2 v[36:37], v[42:43], off
	s_or_b64 exec, exec, s[2:3]
	s_and_saveexec_b64 s[2:3], s[4:5]
	s_cbranch_execz .LBB27_47
.LBB27_54:                              ;   in Loop: Header=BB27_25 Depth=1
	v_mov_b32_e32 v37, s15
	v_add_co_u32_e32 v36, vcc, s14, v28
	v_addc_co_u32_e32 v37, vcc, v27, v37, vcc
	global_store_dwordx2 v[36:37], v[34:35], off
	s_or_b64 exec, exec, s[2:3]
	s_and_saveexec_b64 s[2:3], s[6:7]
	s_cbranch_execz .LBB27_48
.LBB27_55:                              ;   in Loop: Header=BB27_25 Depth=1
	v_mov_b32_e32 v35, s15
	v_add_co_u32_e32 v34, vcc, s14, v22
	v_addc_co_u32_e32 v35, vcc, v21, v35, vcc
	global_store_dwordx2 v[34:35], v[32:33], off
	s_or_b64 exec, exec, s[2:3]
	s_and_saveexec_b64 s[2:3], s[8:9]
	s_cbranch_execz .LBB27_24
.LBB27_56:                              ;   in Loop: Header=BB27_25 Depth=1
	v_mov_b32_e32 v33, s15
	v_add_co_u32_e32 v32, vcc, s14, v16
	v_addc_co_u32_e32 v33, vcc, v15, v33, vcc
	global_store_dwordx2 v[32:33], v[30:31], off
	s_branch .LBB27_24
.LBB27_57:
	s_endpgm
	.section	.rodata,"a",@progbits
	.p2align	6, 0x0
	.amdhsa_kernel _ZN2at6native12_GLOBAL__N_125multi_tensor_apply_kernelINS1_28TensorListScalarListMetadataIN3c107complexIfEELi3EEENS1_26TernaryOpScalarListFunctorIS6_Li3ELi2ELi2EEEJNS0_11LerpFunctorIS6_EEEEEvT_T0_DpT1_
		.amdhsa_group_segment_fixed_size 0
		.amdhsa_private_segment_fixed_size 0
		.amdhsa_kernarg_size 3784
		.amdhsa_user_sgpr_count 6
		.amdhsa_user_sgpr_private_segment_buffer 1
		.amdhsa_user_sgpr_dispatch_ptr 0
		.amdhsa_user_sgpr_queue_ptr 0
		.amdhsa_user_sgpr_kernarg_segment_ptr 1
		.amdhsa_user_sgpr_dispatch_id 0
		.amdhsa_user_sgpr_flat_scratch_init 0
		.amdhsa_user_sgpr_kernarg_preload_length 0
		.amdhsa_user_sgpr_kernarg_preload_offset 0
		.amdhsa_user_sgpr_private_segment_size 0
		.amdhsa_uses_dynamic_stack 0
		.amdhsa_system_sgpr_private_segment_wavefront_offset 0
		.amdhsa_system_sgpr_workgroup_id_x 1
		.amdhsa_system_sgpr_workgroup_id_y 0
		.amdhsa_system_sgpr_workgroup_id_z 0
		.amdhsa_system_sgpr_workgroup_info 0
		.amdhsa_system_vgpr_workitem_id 0
		.amdhsa_next_free_vgpr 60
		.amdhsa_next_free_sgpr 36
		.amdhsa_accum_offset 60
		.amdhsa_reserve_vcc 1
		.amdhsa_reserve_flat_scratch 0
		.amdhsa_float_round_mode_32 0
		.amdhsa_float_round_mode_16_64 0
		.amdhsa_float_denorm_mode_32 3
		.amdhsa_float_denorm_mode_16_64 3
		.amdhsa_dx10_clamp 1
		.amdhsa_ieee_mode 1
		.amdhsa_fp16_overflow 0
		.amdhsa_tg_split 0
		.amdhsa_exception_fp_ieee_invalid_op 0
		.amdhsa_exception_fp_denorm_src 0
		.amdhsa_exception_fp_ieee_div_zero 0
		.amdhsa_exception_fp_ieee_overflow 0
		.amdhsa_exception_fp_ieee_underflow 0
		.amdhsa_exception_fp_ieee_inexact 0
		.amdhsa_exception_int_div_zero 0
	.end_amdhsa_kernel
	.section	.text._ZN2at6native12_GLOBAL__N_125multi_tensor_apply_kernelINS1_28TensorListScalarListMetadataIN3c107complexIfEELi3EEENS1_26TernaryOpScalarListFunctorIS6_Li3ELi2ELi2EEEJNS0_11LerpFunctorIS6_EEEEEvT_T0_DpT1_,"axG",@progbits,_ZN2at6native12_GLOBAL__N_125multi_tensor_apply_kernelINS1_28TensorListScalarListMetadataIN3c107complexIfEELi3EEENS1_26TernaryOpScalarListFunctorIS6_Li3ELi2ELi2EEEJNS0_11LerpFunctorIS6_EEEEEvT_T0_DpT1_,comdat
.Lfunc_end27:
	.size	_ZN2at6native12_GLOBAL__N_125multi_tensor_apply_kernelINS1_28TensorListScalarListMetadataIN3c107complexIfEELi3EEENS1_26TernaryOpScalarListFunctorIS6_Li3ELi2ELi2EEEJNS0_11LerpFunctorIS6_EEEEEvT_T0_DpT1_, .Lfunc_end27-_ZN2at6native12_GLOBAL__N_125multi_tensor_apply_kernelINS1_28TensorListScalarListMetadataIN3c107complexIfEELi3EEENS1_26TernaryOpScalarListFunctorIS6_Li3ELi2ELi2EEEJNS0_11LerpFunctorIS6_EEEEEvT_T0_DpT1_
                                        ; -- End function
	.section	.AMDGPU.csdata,"",@progbits
; Kernel info:
; codeLenInByte = 2352
; NumSgprs: 40
; NumVgprs: 60
; NumAgprs: 0
; TotalNumVgprs: 60
; ScratchSize: 0
; MemoryBound: 1
; FloatMode: 240
; IeeeMode: 1
; LDSByteSize: 0 bytes/workgroup (compile time only)
; SGPRBlocks: 4
; VGPRBlocks: 7
; NumSGPRsForWavesPerEU: 40
; NumVGPRsForWavesPerEU: 60
; AccumOffset: 60
; Occupancy: 8
; WaveLimiterHint : 1
; COMPUTE_PGM_RSRC2:SCRATCH_EN: 0
; COMPUTE_PGM_RSRC2:USER_SGPR: 6
; COMPUTE_PGM_RSRC2:TRAP_HANDLER: 0
; COMPUTE_PGM_RSRC2:TGID_X_EN: 1
; COMPUTE_PGM_RSRC2:TGID_Y_EN: 0
; COMPUTE_PGM_RSRC2:TGID_Z_EN: 0
; COMPUTE_PGM_RSRC2:TIDIG_COMP_CNT: 0
; COMPUTE_PGM_RSRC3_GFX90A:ACCUM_OFFSET: 14
; COMPUTE_PGM_RSRC3_GFX90A:TG_SPLIT: 0
	.section	.text._ZN2at6native12_GLOBAL__N_125multi_tensor_apply_kernelINS1_28TensorListScalarListMetadataIfLi3EEENS1_26TernaryOpScalarListFunctorIN3c104HalfELi3ELi2ELi2EEEJNS0_11LerpFunctorIfEEEEEvT_T0_DpT1_,"axG",@progbits,_ZN2at6native12_GLOBAL__N_125multi_tensor_apply_kernelINS1_28TensorListScalarListMetadataIfLi3EEENS1_26TernaryOpScalarListFunctorIN3c104HalfELi3ELi2ELi2EEEJNS0_11LerpFunctorIfEEEEEvT_T0_DpT1_,comdat
	.globl	_ZN2at6native12_GLOBAL__N_125multi_tensor_apply_kernelINS1_28TensorListScalarListMetadataIfLi3EEENS1_26TernaryOpScalarListFunctorIN3c104HalfELi3ELi2ELi2EEEJNS0_11LerpFunctorIfEEEEEvT_T0_DpT1_ ; -- Begin function _ZN2at6native12_GLOBAL__N_125multi_tensor_apply_kernelINS1_28TensorListScalarListMetadataIfLi3EEENS1_26TernaryOpScalarListFunctorIN3c104HalfELi3ELi2ELi2EEEJNS0_11LerpFunctorIfEEEEEvT_T0_DpT1_
	.p2align	8
	.type	_ZN2at6native12_GLOBAL__N_125multi_tensor_apply_kernelINS1_28TensorListScalarListMetadataIfLi3EEENS1_26TernaryOpScalarListFunctorIN3c104HalfELi3ELi2ELi2EEEJNS0_11LerpFunctorIfEEEEEvT_T0_DpT1_,@function
_ZN2at6native12_GLOBAL__N_125multi_tensor_apply_kernelINS1_28TensorListScalarListMetadataIfLi3EEENS1_26TernaryOpScalarListFunctorIN3c104HalfELi3ELi2ELi2EEEJNS0_11LerpFunctorIfEEEEEvT_T0_DpT1_: ; @_ZN2at6native12_GLOBAL__N_125multi_tensor_apply_kernelINS1_28TensorListScalarListMetadataIfLi3EEENS1_26TernaryOpScalarListFunctorIN3c104HalfELi3ELi2ELi2EEEJNS0_11LerpFunctorIfEEEEEvT_T0_DpT1_
; %bb.0:
	v_mov_b32_e32 v1, s6
	global_load_ubyte v1, v1, s[4:5] offset:1728
	s_add_u32 s0, s4, s6
	s_mul_i32 s1, s6, 3
	s_addc_u32 s2, s5, 0
	s_mul_hi_u32 s3, s6, 3
	s_add_u32 s0, s0, s1
	s_addc_u32 s1, s2, s3
	s_load_dword s2, s[0:1], 0x800
	s_mov_b32 s1, 0
	s_waitcnt lgkmcnt(0)
	s_ashr_i32 s3, s2, 31
	s_waitcnt vmcnt(0)
	v_readfirstlane_b32 s0, v1
	s_lshl_b32 s0, s0, 3
	s_add_u32 s12, s4, s0
	s_load_dwordx2 s[18:19], s[4:5], s0 offset:0x0
	s_load_dwordx2 s[16:17], s[4:5], s0 offset:0x180
	;; [unrolled: 1-line block ×4, first 2 shown]
	s_addc_u32 s0, s5, 0
	s_lshl_b64 s[10:11], s[2:3], 17
	s_waitcnt lgkmcnt(0)
	s_add_u32 s25, s18, s10
	v_lshlrev_b32_e32 v1, 2, v1
	v_mov_b32_e32 v3, s0
	s_addc_u32 s26, s19, s11
	s_and_b32 s0, s25, 7
	v_sub_co_u32_e32 v2, vcc, s12, v1
	s_add_u32 s27, s16, s10
	v_subbrev_co_u32_e32 v1, vcc, 0, v3, vcc
	s_addc_u32 s28, s17, s11
	v_readfirstlane_b32 s12, v2
	v_readfirstlane_b32 s13, v1
	s_add_u32 s29, s8, s10
	s_load_dword s24, s[12:13], 0x600
	s_addc_u32 s30, s9, s11
	s_or_b32 s12, s29, s27
	s_and_b32 s12, s12, 7
	s_cmp_lg_u32 s12, 0
	s_cselect_b64 s[14:15], -1, 0
	s_lshl_b64 s[2:3], s[2:3], 16
	s_sub_u32 s12, s6, s2
	s_subb_u32 s13, s7, s3
	s_and_b32 s2, s6, 3
	s_or_b32 s0, s0, s2
	s_cmp_lg_u64 s[0:1], 0
	s_cselect_b64 s[2:3], -1, 0
	s_or_b64 s[2:3], s[14:15], s[2:3]
	s_andn2_b64 vcc, exec, s[2:3]
	s_mov_b64 s[2:3], -1
	s_cbranch_vccz .LBB28_5
; %bb.1:
	v_mov_b32_e32 v3, 0
	v_lshlrev_b32_e32 v2, 2, v0
	v_cmp_gt_i64_e32 vcc, s[12:13], v[2:3]
	s_and_saveexec_b64 s[14:15], vcc
	s_cbranch_execz .LBB28_4
; %bb.2:
	s_load_dword s0, s[4:5], 0xd14
	s_waitcnt lgkmcnt(0)
	v_cmp_lt_f32_e64 vcc, |s24|, 0.5
	v_sub_f32_e64 v1, 1.0, s24
	v_lshlrev_b32_e32 v4, 3, v0
	s_mov_b64 s[20:21], 0
	s_and_b32 s0, s0, 0xffff
	v_add_lshl_u32 v2, v0, s0, 2
	s_lshl_b32 s31, s0, 2
	s_lshl_b32 s33, s0, 3
	s_mov_b64 s[22:23], 0xffff
	v_mov_b32_e32 v5, s1
.LBB28_3:                               ; =>This Inner Loop Header: Depth=1
	v_mov_b32_e32 v7, s26
	v_add_co_u32_e64 v8, s[2:3], s25, v4
	v_mov_b32_e32 v10, s28
	v_add_co_u32_e64 v6, s[0:1], s27, v4
	v_addc_co_u32_e64 v9, s[2:3], 0, v7, s[2:3]
	v_addc_co_u32_e64 v7, s[0:1], 0, v10, s[0:1]
	global_load_dwordx2 v[10:11], v[8:9], off
	global_load_dwordx2 v[12:13], v[6:7], off
	v_cmp_le_i64_e64 s[0:1], s[12:13], v[2:3]
	v_cmp_lt_u64_e64 s[2:3], s[22:23], v[2:3]
	s_or_b64 s[0:1], s[0:1], s[2:3]
	v_add_co_u32_e64 v2, s[6:7], s31, v2
	s_add_u32 s25, s25, s33
	v_addc_co_u32_e64 v3, s[6:7], v3, v5, s[6:7]
	s_addc_u32 s26, s26, 0
	v_add_co_u32_e64 v6, s[6:7], s29, v4
	s_add_u32 s29, s29, s33
	v_mov_b32_e32 v7, s30
	s_addc_u32 s30, s30, 0
	s_add_u32 s27, s27, s33
	s_addc_u32 s28, s28, 0
	s_and_b64 s[0:1], exec, s[0:1]
	v_addc_co_u32_e64 v7, s[6:7], 0, v7, s[6:7]
	s_or_b64 s[20:21], s[0:1], s[20:21]
	s_waitcnt vmcnt(1)
	v_cvt_f32_f16_e32 v8, v10
	s_waitcnt vmcnt(0)
	v_cvt_f32_f16_e32 v9, v12
	v_cvt_f32_f16_sdwa v14, v10 dst_sel:DWORD dst_unused:UNUSED_PAD src0_sel:WORD_1
	v_cvt_f32_f16_sdwa v15, v12 dst_sel:DWORD dst_unused:UNUSED_PAD src0_sel:WORD_1
	v_cvt_f32_f16_e32 v16, v11
	v_cvt_f32_f16_e32 v17, v13
	v_cvt_f32_f16_sdwa v18, v11 dst_sel:DWORD dst_unused:UNUSED_PAD src0_sel:WORD_1
	v_cvt_f32_f16_sdwa v19, v13 dst_sel:DWORD dst_unused:UNUSED_PAD src0_sel:WORD_1
	v_sub_f32_e32 v8, v9, v8
	v_sub_f32_e32 v9, v15, v14
	v_sub_f32_e32 v14, v17, v16
	v_sub_f32_e32 v15, v19, v18
	v_fma_mix_f32 v16, s24, v8, v10 op_sel_hi:[0,0,1]
	v_fma_mix_f32 v8, -v1, v8, v12 op_sel_hi:[0,0,1]
	v_fma_mix_f32 v10, s24, v9, v10 op_sel:[0,0,1] op_sel_hi:[0,0,1]
	v_fma_mix_f32 v9, -v1, v9, v12 op_sel:[0,0,1] op_sel_hi:[0,0,1]
	v_fma_mix_f32 v12, s24, v14, v11 op_sel_hi:[0,0,1]
	v_fma_mix_f32 v14, -v1, v14, v13 op_sel_hi:[0,0,1]
	v_fma_mix_f32 v11, s24, v15, v11 op_sel:[0,0,1] op_sel_hi:[0,0,1]
	v_fma_mix_f32 v13, -v1, v15, v13 op_sel:[0,0,1] op_sel_hi:[0,0,1]
	v_cndmask_b32_e32 v8, v8, v16, vcc
	v_cndmask_b32_e32 v9, v9, v10, vcc
	;; [unrolled: 1-line block ×4, first 2 shown]
	v_cvt_f16_f32_e32 v8, v8
	v_cvt_f16_f32_e32 v10, v10
	;; [unrolled: 1-line block ×4, first 2 shown]
	v_pack_b32_f16 v9, v10, v11
	v_pack_b32_f16 v8, v8, v12
	global_store_dwordx2 v[6:7], v[8:9], off
	s_andn2_b64 exec, exec, s[20:21]
	s_cbranch_execnz .LBB28_3
.LBB28_4:
	s_or_b64 exec, exec, s[14:15]
	s_mov_b64 s[2:3], 0
.LBB28_5:
	s_andn2_b64 vcc, exec, s[2:3]
	s_cbranch_vccnz .LBB28_25
; %bb.6:
	v_cmp_lt_i64_e64 s[0:1], s[12:13], 1
	s_and_b64 vcc, exec, s[0:1]
	s_cbranch_vccnz .LBB28_25
; %bb.7:
	s_load_dword s0, s[4:5], 0xd14
	v_mov_b32_e32 v2, 0x10000
	v_mov_b32_e32 v3, 0
	v_cmp_lt_u64_e32 vcc, s[12:13], v[2:3]
	v_lshlrev_b32_e32 v14, 1, v0
	s_waitcnt lgkmcnt(0)
	s_and_b32 s4, s0, 0xffff
	s_and_b64 s[0:1], vcc, exec
	v_mov_b32_e32 v19, s19
	v_add_co_u32_e32 v2, vcc, s18, v14
	v_addc_co_u32_e32 v1, vcc, 0, v19, vcc
	v_mov_b32_e32 v21, s17
	v_add_co_u32_e32 v4, vcc, s16, v14
	v_addc_co_u32_e32 v3, vcc, 0, v21, vcc
	v_mov_b32_e32 v15, 0
	v_mov_b32_e32 v23, s9
	v_add_co_u32_e32 v6, vcc, s8, v14
	v_addc_co_u32_e32 v5, vcc, 0, v23, vcc
	v_mad_u64_u32 v[12:13], s[2:3], s4, 6, v[14:15]
	v_add_co_u32_e32 v8, vcc, s18, v12
	v_addc_co_u32_e32 v7, vcc, v19, v13, vcc
	v_add_co_u32_e32 v10, vcc, s16, v12
	v_addc_co_u32_e32 v9, vcc, v21, v13, vcc
	v_add_co_u32_e32 v12, vcc, s8, v12
	s_mul_i32 s6, s4, 3
	v_addc_co_u32_e32 v11, vcc, v23, v13, vcc
	s_cselect_b32 s15, s13, 0
	s_cselect_b32 s14, s12, 0x10000
	s_lshl_b32 s21, s4, 2
	v_add_co_u32_e32 v26, vcc, s6, v0
	v_addc_co_u32_e64 v27, s[2:3], 0, 0, vcc
	v_add_co_u32_e32 v17, vcc, s21, v14
	v_addc_co_u32_e64 v20, s[2:3], 0, 0, vcc
	v_add_co_u32_e32 v14, vcc, s18, v17
	v_addc_co_u32_e32 v13, vcc, v19, v20, vcc
	v_add_co_u32_e32 v16, vcc, s16, v17
	v_addc_co_u32_e32 v15, vcc, v21, v20, vcc
	v_add_co_u32_e32 v18, vcc, s8, v17
	s_lshl_b32 s5, s4, 1
	v_addc_co_u32_e32 v17, vcc, v23, v20, vcc
	v_add_co_u32_e32 v28, vcc, s5, v0
	v_addc_co_u32_e64 v29, s[2:3], 0, 0, vcc
	v_add_co_u32_e32 v30, vcc, s4, v0
	v_lshlrev_b32_e32 v24, 1, v30
	v_addc_co_u32_e64 v31, s[2:3], 0, 0, vcc
	v_add_co_u32_e32 v20, vcc, s18, v24
	v_addc_co_u32_e32 v19, vcc, 0, v19, vcc
	v_add_co_u32_e32 v22, vcc, s16, v24
	v_addc_co_u32_e32 v21, vcc, 0, v21, vcc
	v_add_co_u32_e32 v24, vcc, s8, v24
	s_mov_b32 s20, 0
	v_cmp_lt_f32_e64 s[0:1], |s24|, 0.5
	v_sub_f32_e64 v25, 1.0, s24
	s_lshl_b32 s22, s4, 3
	v_addc_co_u32_e32 v23, vcc, 0, v23, vcc
	s_mov_b64 s[16:17], 0
	s_branch .LBB28_9
.LBB28_8:                               ;   in Loop: Header=BB28_9 Depth=1
	s_or_b64 exec, exec, s[2:3]
	s_add_u32 s16, s16, s21
	s_addc_u32 s17, s17, 0
	s_waitcnt vmcnt(1)
	v_pk_mov_b32 v[32:33], s[12:13], s[12:13] op_sel:[0,1]
	v_cmp_ge_i64_e32 vcc, s[16:17], v[32:33]
	v_mov_b32_e32 v32, 0xffff
	v_mov_b32_e32 v33, 0
	v_cmp_gt_u64_e64 s[2:3], s[16:17], v[32:33]
	s_or_b64 s[2:3], vcc, s[2:3]
	v_mov_b32_e32 v32, s20
	v_add_co_u32_e32 v2, vcc, s22, v2
	v_addc_co_u32_e32 v1, vcc, v1, v32, vcc
	v_add_co_u32_e32 v4, vcc, s22, v4
	v_addc_co_u32_e32 v3, vcc, v3, v32, vcc
	;; [unrolled: 2-line block ×12, first 2 shown]
	s_and_b64 vcc, exec, s[2:3]
	s_cbranch_vccnz .LBB28_25
.LBB28_9:                               ; =>This Inner Loop Header: Depth=1
	v_mov_b32_e32 v33, s17
	v_add_co_u32_e32 v32, vcc, s16, v0
	v_addc_co_u32_e32 v33, vcc, 0, v33, vcc
	v_cmp_gt_u64_e32 vcc, s[14:15], v[32:33]
	v_mov_b32_e32 v33, 0
	s_waitcnt vmcnt(0)
	v_mov_b32_e32 v34, 0
	s_and_saveexec_b64 s[4:5], vcc
	s_cbranch_execz .LBB28_11
; %bb.10:                               ;   in Loop: Header=BB28_9 Depth=1
	v_mov_b32_e32 v32, s11
	v_add_co_u32_e64 v36, s[2:3], s10, v4
	v_addc_co_u32_e64 v37, s[2:3], v3, v32, s[2:3]
	v_add_co_u32_e64 v38, s[2:3], s10, v2
	v_addc_co_u32_e64 v39, s[2:3], v1, v32, s[2:3]
	global_load_ushort v33, v[38:39], off
	global_load_ushort v34, v[36:37], off
.LBB28_11:                              ;   in Loop: Header=BB28_9 Depth=1
	s_or_b64 exec, exec, s[4:5]
	v_mov_b32_e32 v32, s17
	v_add_co_u32_e64 v36, s[2:3], s16, v30
	v_addc_co_u32_e64 v37, s[2:3], v31, v32, s[2:3]
	v_cmp_gt_u64_e64 s[2:3], s[14:15], v[36:37]
	v_mov_b32_e32 v32, 0
	v_mov_b32_e32 v35, 0
	v_mov_b32_e32 v36, 0
	s_and_saveexec_b64 s[6:7], s[2:3]
	s_cbranch_execz .LBB28_13
; %bb.12:                               ;   in Loop: Header=BB28_9 Depth=1
	v_mov_b32_e32 v35, s11
	v_add_co_u32_e64 v38, s[4:5], s10, v22
	v_addc_co_u32_e64 v39, s[4:5], v21, v35, s[4:5]
	v_add_co_u32_e64 v40, s[4:5], s10, v20
	v_addc_co_u32_e64 v41, s[4:5], v19, v35, s[4:5]
	global_load_ushort v35, v[40:41], off
	global_load_ushort v36, v[38:39], off
.LBB28_13:                              ;   in Loop: Header=BB28_9 Depth=1
	s_or_b64 exec, exec, s[6:7]
	v_mov_b32_e32 v37, s17
	v_add_co_u32_e64 v38, s[4:5], s16, v28
	v_addc_co_u32_e64 v39, s[4:5], v29, v37, s[4:5]
	v_cmp_gt_u64_e64 s[4:5], s[14:15], v[38:39]
	v_mov_b32_e32 v37, 0
	s_and_saveexec_b64 s[8:9], s[4:5]
	s_cbranch_execz .LBB28_15
; %bb.14:                               ;   in Loop: Header=BB28_9 Depth=1
	v_mov_b32_e32 v32, s11
	v_add_co_u32_e64 v38, s[6:7], s10, v16
	v_addc_co_u32_e64 v39, s[6:7], v15, v32, s[6:7]
	v_add_co_u32_e64 v40, s[6:7], s10, v14
	v_addc_co_u32_e64 v41, s[6:7], v13, v32, s[6:7]
	global_load_ushort v32, v[40:41], off
	global_load_ushort v37, v[38:39], off
.LBB28_15:                              ;   in Loop: Header=BB28_9 Depth=1
	s_or_b64 exec, exec, s[8:9]
	v_mov_b32_e32 v39, s17
	v_add_co_u32_e64 v38, s[6:7], s16, v26
	v_addc_co_u32_e64 v39, s[6:7], v27, v39, s[6:7]
	v_cmp_gt_u64_e64 s[6:7], s[14:15], v[38:39]
	v_mov_b32_e32 v38, 0
	v_mov_b32_e32 v39, 0
	s_and_saveexec_b64 s[18:19], s[6:7]
	s_cbranch_execnz .LBB28_20
; %bb.16:                               ;   in Loop: Header=BB28_9 Depth=1
	s_or_b64 exec, exec, s[18:19]
	s_and_saveexec_b64 s[8:9], vcc
	s_cbranch_execnz .LBB28_21
.LBB28_17:                              ;   in Loop: Header=BB28_9 Depth=1
	s_or_b64 exec, exec, s[8:9]
	s_and_saveexec_b64 s[8:9], s[2:3]
	s_cbranch_execnz .LBB28_22
.LBB28_18:                              ;   in Loop: Header=BB28_9 Depth=1
	s_or_b64 exec, exec, s[8:9]
	s_and_saveexec_b64 s[2:3], s[4:5]
	s_cbranch_execnz .LBB28_23
.LBB28_19:                              ;   in Loop: Header=BB28_9 Depth=1
	s_or_b64 exec, exec, s[2:3]
	s_and_saveexec_b64 s[2:3], s[6:7]
	s_cbranch_execz .LBB28_8
	s_branch .LBB28_24
.LBB28_20:                              ;   in Loop: Header=BB28_9 Depth=1
	v_mov_b32_e32 v38, s11
	v_add_co_u32_e64 v40, s[8:9], s10, v10
	v_addc_co_u32_e64 v41, s[8:9], v9, v38, s[8:9]
	v_add_co_u32_e64 v42, s[8:9], s10, v8
	v_addc_co_u32_e64 v43, s[8:9], v7, v38, s[8:9]
	global_load_ushort v38, v[42:43], off
	global_load_ushort v39, v[40:41], off
	s_or_b64 exec, exec, s[18:19]
	s_and_saveexec_b64 s[8:9], vcc
	s_cbranch_execz .LBB28_17
.LBB28_21:                              ;   in Loop: Header=BB28_9 Depth=1
	s_waitcnt vmcnt(0)
	v_cvt_f32_f16_e32 v40, v34
	v_cvt_f32_f16_e32 v41, v33
	v_mov_b32_e32 v42, s11
	v_sub_f32_e32 v40, v40, v41
	v_fma_mix_f32 v33, s24, v40, v33 op_sel_hi:[0,0,1]
	v_fma_mix_f32 v34, -v25, v40, v34 op_sel_hi:[0,0,1]
	v_cndmask_b32_e64 v33, v34, v33, s[0:1]
	v_cvt_f16_f32_e32 v33, v33
	v_add_co_u32_e32 v40, vcc, s10, v6
	v_addc_co_u32_e32 v41, vcc, v5, v42, vcc
	global_store_short v[40:41], v33, off
	s_or_b64 exec, exec, s[8:9]
	s_and_saveexec_b64 s[8:9], s[2:3]
	s_cbranch_execz .LBB28_18
.LBB28_22:                              ;   in Loop: Header=BB28_9 Depth=1
	s_waitcnt vmcnt(1)
	v_cvt_f32_f16_e32 v33, v35
	s_waitcnt vmcnt(0)
	v_cvt_f32_f16_e32 v34, v36
	v_mov_b32_e32 v40, s11
	v_sub_f32_e32 v33, v34, v33
	v_fma_mix_f32 v34, s24, v33, v35 op_sel_hi:[0,0,1]
	v_fma_mix_f32 v33, -v25, v33, v36 op_sel_hi:[0,0,1]
	v_cndmask_b32_e64 v33, v33, v34, s[0:1]
	v_cvt_f16_f32_e32 v33, v33
	v_add_co_u32_e32 v34, vcc, s10, v24
	v_addc_co_u32_e32 v35, vcc, v23, v40, vcc
	global_store_short v[34:35], v33, off
	s_or_b64 exec, exec, s[8:9]
	s_and_saveexec_b64 s[2:3], s[4:5]
	s_cbranch_execz .LBB28_19
.LBB28_23:                              ;   in Loop: Header=BB28_9 Depth=1
	s_waitcnt vmcnt(1)
	v_cvt_f32_f16_e32 v33, v32
	s_waitcnt vmcnt(0)
	v_cvt_f32_f16_e32 v34, v37
	v_mov_b32_e32 v35, s11
	v_sub_f32_e32 v33, v34, v33
	v_fma_mix_f32 v32, s24, v33, v32 op_sel_hi:[0,0,1]
	v_fma_mix_f32 v33, -v25, v33, v37 op_sel_hi:[0,0,1]
	v_cndmask_b32_e64 v32, v33, v32, s[0:1]
	v_cvt_f16_f32_e32 v34, v32
	v_add_co_u32_e32 v32, vcc, s10, v18
	v_addc_co_u32_e32 v33, vcc, v17, v35, vcc
	global_store_short v[32:33], v34, off
	s_or_b64 exec, exec, s[2:3]
	s_and_saveexec_b64 s[2:3], s[6:7]
	s_cbranch_execz .LBB28_8
.LBB28_24:                              ;   in Loop: Header=BB28_9 Depth=1
	s_waitcnt vmcnt(1)
	v_cvt_f32_f16_e32 v32, v38
	s_waitcnt vmcnt(0)
	v_cvt_f32_f16_e32 v33, v39
	v_mov_b32_e32 v34, s11
	v_sub_f32_e32 v32, v33, v32
	v_fma_mix_f32 v33, s24, v32, v38 op_sel_hi:[0,0,1]
	v_fma_mix_f32 v32, -v25, v32, v39 op_sel_hi:[0,0,1]
	v_cndmask_b32_e64 v32, v32, v33, s[0:1]
	v_cvt_f16_f32_e32 v35, v32
	v_add_co_u32_e32 v32, vcc, s10, v12
	v_addc_co_u32_e32 v33, vcc, v11, v34, vcc
	global_store_short v[32:33], v35, off
	s_branch .LBB28_8
.LBB28_25:
	s_endpgm
	.section	.rodata,"a",@progbits
	.p2align	6, 0x0
	.amdhsa_kernel _ZN2at6native12_GLOBAL__N_125multi_tensor_apply_kernelINS1_28TensorListScalarListMetadataIfLi3EEENS1_26TernaryOpScalarListFunctorIN3c104HalfELi3ELi2ELi2EEEJNS0_11LerpFunctorIfEEEEEvT_T0_DpT1_
		.amdhsa_group_segment_fixed_size 0
		.amdhsa_private_segment_fixed_size 0
		.amdhsa_kernarg_size 3592
		.amdhsa_user_sgpr_count 6
		.amdhsa_user_sgpr_private_segment_buffer 1
		.amdhsa_user_sgpr_dispatch_ptr 0
		.amdhsa_user_sgpr_queue_ptr 0
		.amdhsa_user_sgpr_kernarg_segment_ptr 1
		.amdhsa_user_sgpr_dispatch_id 0
		.amdhsa_user_sgpr_flat_scratch_init 0
		.amdhsa_user_sgpr_kernarg_preload_length 0
		.amdhsa_user_sgpr_kernarg_preload_offset 0
		.amdhsa_user_sgpr_private_segment_size 0
		.amdhsa_uses_dynamic_stack 0
		.amdhsa_system_sgpr_private_segment_wavefront_offset 0
		.amdhsa_system_sgpr_workgroup_id_x 1
		.amdhsa_system_sgpr_workgroup_id_y 0
		.amdhsa_system_sgpr_workgroup_id_z 0
		.amdhsa_system_sgpr_workgroup_info 0
		.amdhsa_system_vgpr_workitem_id 0
		.amdhsa_next_free_vgpr 44
		.amdhsa_next_free_sgpr 34
		.amdhsa_accum_offset 44
		.amdhsa_reserve_vcc 1
		.amdhsa_reserve_flat_scratch 0
		.amdhsa_float_round_mode_32 0
		.amdhsa_float_round_mode_16_64 0
		.amdhsa_float_denorm_mode_32 3
		.amdhsa_float_denorm_mode_16_64 3
		.amdhsa_dx10_clamp 1
		.amdhsa_ieee_mode 1
		.amdhsa_fp16_overflow 0
		.amdhsa_tg_split 0
		.amdhsa_exception_fp_ieee_invalid_op 0
		.amdhsa_exception_fp_denorm_src 0
		.amdhsa_exception_fp_ieee_div_zero 0
		.amdhsa_exception_fp_ieee_overflow 0
		.amdhsa_exception_fp_ieee_underflow 0
		.amdhsa_exception_fp_ieee_inexact 0
		.amdhsa_exception_int_div_zero 0
	.end_amdhsa_kernel
	.section	.text._ZN2at6native12_GLOBAL__N_125multi_tensor_apply_kernelINS1_28TensorListScalarListMetadataIfLi3EEENS1_26TernaryOpScalarListFunctorIN3c104HalfELi3ELi2ELi2EEEJNS0_11LerpFunctorIfEEEEEvT_T0_DpT1_,"axG",@progbits,_ZN2at6native12_GLOBAL__N_125multi_tensor_apply_kernelINS1_28TensorListScalarListMetadataIfLi3EEENS1_26TernaryOpScalarListFunctorIN3c104HalfELi3ELi2ELi2EEEJNS0_11LerpFunctorIfEEEEEvT_T0_DpT1_,comdat
.Lfunc_end28:
	.size	_ZN2at6native12_GLOBAL__N_125multi_tensor_apply_kernelINS1_28TensorListScalarListMetadataIfLi3EEENS1_26TernaryOpScalarListFunctorIN3c104HalfELi3ELi2ELi2EEEJNS0_11LerpFunctorIfEEEEEvT_T0_DpT1_, .Lfunc_end28-_ZN2at6native12_GLOBAL__N_125multi_tensor_apply_kernelINS1_28TensorListScalarListMetadataIfLi3EEENS1_26TernaryOpScalarListFunctorIN3c104HalfELi3ELi2ELi2EEEJNS0_11LerpFunctorIfEEEEEvT_T0_DpT1_
                                        ; -- End function
	.section	.AMDGPU.csdata,"",@progbits
; Kernel info:
; codeLenInByte = 1900
; NumSgprs: 38
; NumVgprs: 44
; NumAgprs: 0
; TotalNumVgprs: 44
; ScratchSize: 0
; MemoryBound: 0
; FloatMode: 240
; IeeeMode: 1
; LDSByteSize: 0 bytes/workgroup (compile time only)
; SGPRBlocks: 4
; VGPRBlocks: 5
; NumSGPRsForWavesPerEU: 38
; NumVGPRsForWavesPerEU: 44
; AccumOffset: 44
; Occupancy: 8
; WaveLimiterHint : 0
; COMPUTE_PGM_RSRC2:SCRATCH_EN: 0
; COMPUTE_PGM_RSRC2:USER_SGPR: 6
; COMPUTE_PGM_RSRC2:TRAP_HANDLER: 0
; COMPUTE_PGM_RSRC2:TGID_X_EN: 1
; COMPUTE_PGM_RSRC2:TGID_Y_EN: 0
; COMPUTE_PGM_RSRC2:TGID_Z_EN: 0
; COMPUTE_PGM_RSRC2:TIDIG_COMP_CNT: 0
; COMPUTE_PGM_RSRC3_GFX90A:ACCUM_OFFSET: 10
; COMPUTE_PGM_RSRC3_GFX90A:TG_SPLIT: 0
	.section	.text._ZN2at6native12_GLOBAL__N_125multi_tensor_apply_kernelINS1_28TensorListScalarListMetadataIfLi3EEENS1_26TernaryOpScalarListFunctorIN3c108BFloat16ELi3ELi2ELi2EEEJNS0_11LerpFunctorIfEEEEEvT_T0_DpT1_,"axG",@progbits,_ZN2at6native12_GLOBAL__N_125multi_tensor_apply_kernelINS1_28TensorListScalarListMetadataIfLi3EEENS1_26TernaryOpScalarListFunctorIN3c108BFloat16ELi3ELi2ELi2EEEJNS0_11LerpFunctorIfEEEEEvT_T0_DpT1_,comdat
	.globl	_ZN2at6native12_GLOBAL__N_125multi_tensor_apply_kernelINS1_28TensorListScalarListMetadataIfLi3EEENS1_26TernaryOpScalarListFunctorIN3c108BFloat16ELi3ELi2ELi2EEEJNS0_11LerpFunctorIfEEEEEvT_T0_DpT1_ ; -- Begin function _ZN2at6native12_GLOBAL__N_125multi_tensor_apply_kernelINS1_28TensorListScalarListMetadataIfLi3EEENS1_26TernaryOpScalarListFunctorIN3c108BFloat16ELi3ELi2ELi2EEEJNS0_11LerpFunctorIfEEEEEvT_T0_DpT1_
	.p2align	8
	.type	_ZN2at6native12_GLOBAL__N_125multi_tensor_apply_kernelINS1_28TensorListScalarListMetadataIfLi3EEENS1_26TernaryOpScalarListFunctorIN3c108BFloat16ELi3ELi2ELi2EEEJNS0_11LerpFunctorIfEEEEEvT_T0_DpT1_,@function
_ZN2at6native12_GLOBAL__N_125multi_tensor_apply_kernelINS1_28TensorListScalarListMetadataIfLi3EEENS1_26TernaryOpScalarListFunctorIN3c108BFloat16ELi3ELi2ELi2EEEJNS0_11LerpFunctorIfEEEEEvT_T0_DpT1_: ; @_ZN2at6native12_GLOBAL__N_125multi_tensor_apply_kernelINS1_28TensorListScalarListMetadataIfLi3EEENS1_26TernaryOpScalarListFunctorIN3c108BFloat16ELi3ELi2ELi2EEEJNS0_11LerpFunctorIfEEEEEvT_T0_DpT1_
; %bb.0:
	v_mov_b32_e32 v1, s6
	global_load_ubyte v1, v1, s[4:5] offset:1728
	s_add_u32 s0, s4, s6
	s_mul_i32 s1, s6, 3
	s_addc_u32 s2, s5, 0
	s_mul_hi_u32 s3, s6, 3
	s_add_u32 s0, s0, s1
	s_addc_u32 s1, s2, s3
	s_load_dword s0, s[0:1], 0x800
	s_mov_b32 s3, 0
	s_waitcnt lgkmcnt(0)
	s_ashr_i32 s1, s0, 31
	s_waitcnt vmcnt(0)
	v_readfirstlane_b32 s2, v1
	s_lshl_b32 s2, s2, 3
	s_add_u32 s12, s4, s2
	s_load_dwordx2 s[18:19], s[4:5], s2 offset:0x0
	s_load_dwordx2 s[16:17], s[4:5], s2 offset:0x180
	;; [unrolled: 1-line block ×4, first 2 shown]
	v_lshlrev_b32_e32 v1, 2, v1
	s_addc_u32 s2, s5, 0
	v_mov_b32_e32 v3, s2
	v_sub_co_u32_e32 v2, vcc, s12, v1
	s_lshl_b64 s[10:11], s[0:1], 17
	v_subbrev_co_u32_e32 v1, vcc, 0, v3, vcc
	v_readfirstlane_b32 s12, v2
	v_readfirstlane_b32 s13, v1
	s_waitcnt lgkmcnt(0)
	s_add_u32 s14, s16, s10
	s_load_dword s24, s[12:13], 0x600
	s_or_b32 s12, s8, s14
	s_and_b32 s2, s18, 7
	s_and_b32 s12, s12, 7
	s_cmp_lg_u32 s12, 0
	s_cselect_b64 s[14:15], -1, 0
	s_lshl_b64 s[0:1], s[0:1], 16
	s_sub_u32 s12, s6, s0
	s_subb_u32 s13, s7, s1
	s_and_b32 s0, s6, 3
	s_or_b32 s2, s2, s0
	s_cmp_lg_u64 s[2:3], 0
	s_cselect_b64 s[0:1], -1, 0
	s_or_b64 s[0:1], s[14:15], s[0:1]
	s_andn2_b64 vcc, exec, s[0:1]
	s_mov_b64 s[0:1], -1
	s_cbranch_vccz .LBB29_5
; %bb.1:
	v_mov_b32_e32 v3, 0
	v_lshlrev_b32_e32 v2, 2, v0
	v_cmp_gt_i64_e32 vcc, s[12:13], v[2:3]
	s_and_saveexec_b64 s[14:15], vcc
	s_cbranch_execz .LBB29_4
; %bb.2:
	s_load_dword s0, s[4:5], 0xd14
	v_lshlrev_b32_e32 v1, 3, v0
	v_mov_b32_e32 v2, s11
	s_waitcnt lgkmcnt(0)
	v_cmp_lt_f32_e64 vcc, |s24|, 0.5
	v_sub_f32_e64 v5, 1.0, s24
	s_and_b32 s2, s0, 0xffff
	v_add_co_u32_e64 v4, s[0:1], s10, v1
	v_addc_co_u32_e64 v1, s[0:1], 0, v2, s[0:1]
	s_lshl_b32 s25, s2, 3
	v_add_lshl_u32 v2, v0, s2, 2
	s_lshl_b32 s26, s2, 2
	s_mov_b64 s[20:21], 0
	v_mov_b32_e32 v6, s19
	v_mov_b32_e32 v7, s17
	s_movk_i32 s27, 0x7fff
	v_mov_b32_e32 v8, 0x7fc0
	v_mov_b32_e32 v9, 0x7fc00000
	;; [unrolled: 1-line block ×3, first 2 shown]
	s_mov_b64 s[22:23], 0xffff
	v_mov_b32_e32 v11, s3
	v_mov_b32_e32 v12, s3
.LBB29_3:                               ; =>This Inner Loop Header: Depth=1
	v_add_co_u32_e64 v14, s[0:1], s18, v4
	v_addc_co_u32_e64 v15, s[0:1], v6, v1, s[0:1]
	v_add_co_u32_e64 v16, s[0:1], s16, v4
	v_addc_co_u32_e64 v17, s[0:1], v7, v1, s[0:1]
	global_load_dwordx2 v[18:19], v[14:15], off
	global_load_dwordx2 v[20:21], v[16:17], off
	v_add_co_u32_e64 v14, s[0:1], s8, v4
	v_addc_co_u32_e64 v15, s[0:1], v10, v1, s[0:1]
	v_add_co_u32_e64 v4, s[6:7], s25, v4
	v_cmp_le_i64_e64 s[0:1], s[12:13], v[2:3]
	v_cmp_lt_u64_e64 s[2:3], s[22:23], v[2:3]
	v_addc_co_u32_e64 v1, s[6:7], v1, v11, s[6:7]
	v_add_co_u32_e64 v2, s[6:7], s26, v2
	s_or_b64 s[0:1], s[0:1], s[2:3]
	v_addc_co_u32_e64 v3, s[6:7], v3, v12, s[6:7]
	s_and_b64 s[0:1], exec, s[0:1]
	s_or_b64 s[20:21], s[0:1], s[20:21]
	s_waitcnt vmcnt(1)
	v_lshlrev_b32_e32 v13, 16, v18
	s_waitcnt vmcnt(0)
	v_lshlrev_b32_e32 v16, 16, v20
	v_and_b32_e32 v17, 0xffff0000, v18
	v_and_b32_e32 v22, 0xffff0000, v20
	v_alignbit_b32 v18, v19, v18, 16
	v_alignbit_b32 v20, v21, v20, 16
	v_and_b32_e32 v19, 0xffff0000, v19
	v_and_b32_e32 v21, 0xffff0000, v21
	v_sub_f32_e32 v23, v16, v13
	v_sub_f32_e32 v24, v22, v17
	v_and_b32_e32 v18, 0xffff0000, v18
	v_and_b32_e32 v20, 0xffff0000, v20
	v_sub_f32_e32 v25, v21, v19
	v_fmac_f32_e32 v13, s24, v23
	v_fma_f32 v16, -v5, v23, v16
	v_fmac_f32_e32 v17, s24, v24
	v_fma_f32 v22, -v5, v24, v22
	v_sub_f32_e32 v23, v20, v18
	v_fmac_f32_e32 v19, s24, v25
	v_fma_f32 v21, -v5, v25, v21
	v_cndmask_b32_e32 v13, v16, v13, vcc
	v_cndmask_b32_e32 v16, v22, v17, vcc
	v_fmac_f32_e32 v18, s24, v23
	v_fma_f32 v17, -v5, v23, v20
	v_cndmask_b32_e32 v19, v21, v19, vcc
	v_bfe_u32 v20, v13, 16, 1
	v_bfe_u32 v21, v16, 16, 1
	v_cndmask_b32_e32 v17, v17, v18, vcc
	v_bfe_u32 v18, v19, 16, 1
	v_add3_u32 v20, v13, v20, s27
	v_add3_u32 v21, v16, v21, s27
	v_bfe_u32 v22, v17, 16, 1
	v_add3_u32 v18, v19, v18, s27
	v_lshrrev_b32_e32 v20, 16, v20
	v_and_b32_e32 v21, 0xffff0000, v21
	v_cmp_o_f32_e64 s[0:1], v16, v16
	v_add3_u32 v16, v17, v22, s27
	v_cmp_o_f32_e64 s[6:7], v13, v13
	v_and_b32_e32 v18, 0xffff0000, v18
	v_cmp_o_f32_e64 s[2:3], v19, v19
	v_cndmask_b32_e64 v13, v8, v20, s[6:7]
	v_cndmask_b32_e64 v19, v9, v21, s[0:1]
	v_lshrrev_b32_e32 v16, 16, v16
	v_cmp_o_f32_e64 s[0:1], v17, v17
	v_cndmask_b32_e64 v18, v9, v18, s[2:3]
	v_or_b32_e32 v13, v13, v19
	v_cndmask_b32_e64 v16, v8, v16, s[0:1]
	v_or3_b32 v17, 0, v16, v18
	v_or3_b32 v16, v13, 0, 0
	global_store_dwordx2 v[14:15], v[16:17], off
	s_andn2_b64 exec, exec, s[20:21]
	s_cbranch_execnz .LBB29_3
.LBB29_4:
	s_or_b64 exec, exec, s[14:15]
	s_mov_b64 s[0:1], 0
.LBB29_5:
	s_andn2_b64 vcc, exec, s[0:1]
	s_cbranch_vccnz .LBB29_25
; %bb.6:
	v_cmp_lt_i64_e64 s[0:1], s[12:13], 1
	s_and_b64 vcc, exec, s[0:1]
	s_cbranch_vccnz .LBB29_25
; %bb.7:
	s_load_dword s0, s[4:5], 0xd14
	v_mov_b32_e32 v2, 0x10000
	v_mov_b32_e32 v3, 0
	v_cmp_lt_u64_e32 vcc, s[12:13], v[2:3]
	v_lshlrev_b32_e32 v14, 1, v0
	s_waitcnt lgkmcnt(0)
	s_and_b32 s4, s0, 0xffff
	s_and_b64 s[0:1], vcc, exec
	v_mov_b32_e32 v19, s19
	v_add_co_u32_e32 v2, vcc, s18, v14
	v_addc_co_u32_e32 v1, vcc, 0, v19, vcc
	v_mov_b32_e32 v21, s17
	v_add_co_u32_e32 v4, vcc, s16, v14
	v_addc_co_u32_e32 v3, vcc, 0, v21, vcc
	v_mov_b32_e32 v15, 0
	v_mov_b32_e32 v23, s9
	v_add_co_u32_e32 v6, vcc, s8, v14
	v_addc_co_u32_e32 v5, vcc, 0, v23, vcc
	v_mad_u64_u32 v[12:13], s[2:3], s4, 6, v[14:15]
	v_add_co_u32_e32 v8, vcc, s18, v12
	v_addc_co_u32_e32 v7, vcc, v19, v13, vcc
	v_add_co_u32_e32 v10, vcc, s16, v12
	v_addc_co_u32_e32 v9, vcc, v21, v13, vcc
	v_add_co_u32_e32 v12, vcc, s8, v12
	s_mul_i32 s6, s4, 3
	v_addc_co_u32_e32 v11, vcc, v23, v13, vcc
	s_cselect_b32 s15, s13, 0
	s_cselect_b32 s14, s12, 0x10000
	s_lshl_b32 s21, s4, 2
	v_add_co_u32_e32 v28, vcc, s6, v0
	v_addc_co_u32_e64 v29, s[2:3], 0, 0, vcc
	v_add_co_u32_e32 v17, vcc, s21, v14
	v_addc_co_u32_e64 v20, s[2:3], 0, 0, vcc
	v_add_co_u32_e32 v14, vcc, s18, v17
	v_addc_co_u32_e32 v13, vcc, v19, v20, vcc
	v_add_co_u32_e32 v16, vcc, s16, v17
	v_addc_co_u32_e32 v15, vcc, v21, v20, vcc
	v_add_co_u32_e32 v18, vcc, s8, v17
	s_lshl_b32 s5, s4, 1
	v_addc_co_u32_e32 v17, vcc, v23, v20, vcc
	v_add_co_u32_e32 v30, vcc, s5, v0
	v_addc_co_u32_e64 v31, s[2:3], 0, 0, vcc
	v_add_co_u32_e32 v32, vcc, s4, v0
	v_lshlrev_b32_e32 v24, 1, v32
	v_addc_co_u32_e64 v33, s[2:3], 0, 0, vcc
	v_add_co_u32_e32 v20, vcc, s18, v24
	v_addc_co_u32_e32 v19, vcc, 0, v19, vcc
	v_add_co_u32_e32 v22, vcc, s16, v24
	v_addc_co_u32_e32 v21, vcc, 0, v21, vcc
	v_add_co_u32_e32 v24, vcc, s8, v24
	s_mov_b32 s20, 0
	v_cmp_lt_f32_e64 s[0:1], |s24|, 0.5
	v_sub_f32_e64 v25, 1.0, s24
	s_lshl_b32 s22, s4, 3
	v_addc_co_u32_e32 v23, vcc, 0, v23, vcc
	s_mov_b64 s[16:17], 0
	s_movk_i32 s23, 0x7fff
	v_mov_b32_e32 v34, 0x7fc0
	s_branch .LBB29_9
.LBB29_8:                               ;   in Loop: Header=BB29_9 Depth=1
	s_or_b64 exec, exec, s[2:3]
	s_add_u32 s16, s16, s21
	s_addc_u32 s17, s17, 0
	v_pk_mov_b32 v[26:27], s[12:13], s[12:13] op_sel:[0,1]
	v_cmp_ge_i64_e32 vcc, s[16:17], v[26:27]
	v_mov_b32_e32 v26, 0xffff
	v_mov_b32_e32 v27, 0
	v_cmp_gt_u64_e64 s[2:3], s[16:17], v[26:27]
	s_or_b64 s[2:3], vcc, s[2:3]
	v_mov_b32_e32 v26, s20
	v_add_co_u32_e32 v2, vcc, s22, v2
	v_addc_co_u32_e32 v1, vcc, v1, v26, vcc
	v_add_co_u32_e32 v4, vcc, s22, v4
	v_addc_co_u32_e32 v3, vcc, v3, v26, vcc
	;; [unrolled: 2-line block ×12, first 2 shown]
	s_and_b64 vcc, exec, s[2:3]
	s_cbranch_vccnz .LBB29_25
.LBB29_9:                               ; =>This Inner Loop Header: Depth=1
	v_mov_b32_e32 v27, s17
	v_add_co_u32_e32 v26, vcc, s16, v0
	v_addc_co_u32_e32 v27, vcc, 0, v27, vcc
	v_cmp_gt_u64_e32 vcc, s[14:15], v[26:27]
	v_pk_mov_b32 v[26:27], 0, 0
	s_waitcnt vmcnt(0)
	v_mov_b32_e32 v36, 0
	s_and_saveexec_b64 s[4:5], vcc
	s_cbranch_execz .LBB29_11
; %bb.10:                               ;   in Loop: Header=BB29_9 Depth=1
	v_mov_b32_e32 v35, s11
	v_add_co_u32_e64 v26, s[2:3], s10, v2
	v_addc_co_u32_e64 v27, s[2:3], v1, v35, s[2:3]
	global_load_ushort v37, v[26:27], off
	v_add_co_u32_e64 v26, s[2:3], s10, v4
	v_addc_co_u32_e64 v27, s[2:3], v3, v35, s[2:3]
	global_load_ushort v36, v[26:27], off
	v_mov_b32_e32 v27, s20
	s_waitcnt vmcnt(1)
	v_and_b32_e32 v26, 0xffff, v37
.LBB29_11:                              ;   in Loop: Header=BB29_9 Depth=1
	s_or_b64 exec, exec, s[4:5]
	v_mov_b32_e32 v35, s17
	v_add_co_u32_e64 v38, s[2:3], s16, v32
	v_addc_co_u32_e64 v39, s[2:3], v33, v35, s[2:3]
	v_cmp_gt_u64_e64 s[2:3], s[14:15], v[38:39]
	v_mov_b32_e32 v35, 0
	v_mov_b32_e32 v37, 0
	s_and_saveexec_b64 s[6:7], s[2:3]
	s_cbranch_execz .LBB29_13
; %bb.12:                               ;   in Loop: Header=BB29_9 Depth=1
	v_mov_b32_e32 v37, s11
	v_add_co_u32_e64 v38, s[4:5], s10, v20
	v_addc_co_u32_e64 v39, s[4:5], v19, v37, s[4:5]
	global_load_ushort v40, v[38:39], off
	v_add_co_u32_e64 v38, s[4:5], s10, v22
	v_addc_co_u32_e64 v39, s[4:5], v21, v37, s[4:5]
	global_load_ushort v37, v[38:39], off
	s_waitcnt vmcnt(1)
	v_lshl_or_b32 v26, v40, 16, v26
.LBB29_13:                              ;   in Loop: Header=BB29_9 Depth=1
	s_or_b64 exec, exec, s[6:7]
	v_mov_b32_e32 v39, s17
	v_add_co_u32_e64 v38, s[4:5], s16, v30
	v_addc_co_u32_e64 v39, s[4:5], v31, v39, s[4:5]
	v_cmp_gt_u64_e64 s[4:5], s[14:15], v[38:39]
	s_and_saveexec_b64 s[8:9], s[4:5]
	s_cbranch_execz .LBB29_15
; %bb.14:                               ;   in Loop: Header=BB29_9 Depth=1
	v_mov_b32_e32 v35, s11
	v_add_co_u32_e64 v38, s[6:7], s10, v14
	v_addc_co_u32_e64 v39, s[6:7], v13, v35, s[6:7]
	global_load_ushort v40, v[38:39], off
	v_add_co_u32_e64 v38, s[6:7], s10, v16
	v_addc_co_u32_e64 v39, s[6:7], v15, v35, s[6:7]
	global_load_ushort v35, v[38:39], off
	s_waitcnt vmcnt(1)
	v_or_b32_e32 v27, v40, v27
.LBB29_15:                              ;   in Loop: Header=BB29_9 Depth=1
	s_or_b64 exec, exec, s[8:9]
	v_mov_b32_e32 v39, s17
	v_add_co_u32_e64 v38, s[6:7], s16, v28
	v_addc_co_u32_e64 v39, s[6:7], v29, v39, s[6:7]
	v_cmp_gt_u64_e64 s[6:7], s[14:15], v[38:39]
	v_mov_b32_e32 v38, 0
	s_and_saveexec_b64 s[18:19], s[6:7]
	s_cbranch_execnz .LBB29_20
; %bb.16:                               ;   in Loop: Header=BB29_9 Depth=1
	s_or_b64 exec, exec, s[18:19]
	s_and_saveexec_b64 s[8:9], vcc
	s_cbranch_execnz .LBB29_21
.LBB29_17:                              ;   in Loop: Header=BB29_9 Depth=1
	s_or_b64 exec, exec, s[8:9]
	s_and_saveexec_b64 s[8:9], s[2:3]
	s_cbranch_execnz .LBB29_22
.LBB29_18:                              ;   in Loop: Header=BB29_9 Depth=1
	s_or_b64 exec, exec, s[8:9]
	s_and_saveexec_b64 s[2:3], s[4:5]
	s_cbranch_execnz .LBB29_23
.LBB29_19:                              ;   in Loop: Header=BB29_9 Depth=1
	s_or_b64 exec, exec, s[2:3]
	s_and_saveexec_b64 s[2:3], s[6:7]
	s_cbranch_execz .LBB29_8
	s_branch .LBB29_24
.LBB29_20:                              ;   in Loop: Header=BB29_9 Depth=1
	v_mov_b32_e32 v40, s11
	v_add_co_u32_e64 v38, s[8:9], s10, v8
	v_addc_co_u32_e64 v39, s[8:9], v7, v40, s[8:9]
	global_load_ushort v41, v[38:39], off
	v_add_co_u32_e64 v38, s[8:9], s10, v10
	v_addc_co_u32_e64 v39, s[8:9], v9, v40, s[8:9]
	global_load_ushort v38, v[38:39], off
	s_waitcnt vmcnt(1)
	v_lshlrev_b32_e32 v39, 16, v41
	v_or_b32_e32 v27, v39, v27
	s_or_b64 exec, exec, s[18:19]
	s_and_saveexec_b64 s[8:9], vcc
	s_cbranch_execz .LBB29_17
.LBB29_21:                              ;   in Loop: Header=BB29_9 Depth=1
	v_lshlrev_b32_e32 v39, 16, v26
	s_waitcnt vmcnt(0)
	v_lshlrev_b32_e32 v36, 16, v36
	v_sub_f32_e32 v40, v36, v39
	v_fmac_f32_e32 v39, s24, v40
	v_fma_f32 v36, -v25, v40, v36
	v_cndmask_b32_e64 v36, v36, v39, s[0:1]
	v_bfe_u32 v39, v36, 16, 1
	v_mov_b32_e32 v41, s11
	v_add_co_u32_e32 v40, vcc, s10, v6
	v_add3_u32 v39, v36, v39, s23
	v_addc_co_u32_e32 v41, vcc, v5, v41, vcc
	v_lshrrev_b32_e32 v39, 16, v39
	v_cmp_o_f32_e32 vcc, v36, v36
	v_cndmask_b32_e32 v36, v34, v39, vcc
	global_store_short v[40:41], v36, off
	s_or_b64 exec, exec, s[8:9]
	s_and_saveexec_b64 s[8:9], s[2:3]
	s_cbranch_execz .LBB29_18
.LBB29_22:                              ;   in Loop: Header=BB29_9 Depth=1
	s_waitcnt vmcnt(0)
	v_and_b32_e32 v36, 0xffff0000, v26
	v_lshlrev_b32_e32 v37, 16, v37
	v_sub_f32_e32 v39, v37, v36
	v_fmac_f32_e32 v36, s24, v39
	v_fma_f32 v37, -v25, v39, v37
	v_cndmask_b32_e64 v36, v37, v36, s[0:1]
	v_bfe_u32 v37, v36, 16, 1
	v_add3_u32 v37, v36, v37, s23
	v_lshrrev_b32_e32 v37, 16, v37
	v_cmp_o_f32_e32 vcc, v36, v36
	v_cndmask_b32_e32 v39, v34, v37, vcc
	v_mov_b32_e32 v37, s11
	v_add_co_u32_e32 v36, vcc, s10, v24
	v_addc_co_u32_e32 v37, vcc, v23, v37, vcc
	global_store_short v[36:37], v39, off
	s_or_b64 exec, exec, s[8:9]
	s_and_saveexec_b64 s[2:3], s[4:5]
	s_cbranch_execz .LBB29_19
.LBB29_23:                              ;   in Loop: Header=BB29_9 Depth=1
	v_alignbit_b32 v26, v27, v26, 16
	v_and_b32_e32 v26, 0xffff0000, v26
	s_waitcnt vmcnt(0)
	v_lshlrev_b32_e32 v35, 16, v35
	v_sub_f32_e32 v36, v35, v26
	v_fmac_f32_e32 v26, s24, v36
	v_fma_f32 v35, -v25, v36, v35
	v_cndmask_b32_e64 v26, v35, v26, s[0:1]
	v_bfe_u32 v35, v26, 16, 1
	v_add3_u32 v35, v26, v35, s23
	v_lshrrev_b32_e32 v35, 16, v35
	v_cmp_o_f32_e32 vcc, v26, v26
	v_cndmask_b32_e32 v26, v34, v35, vcc
	v_mov_b32_e32 v35, s11
	v_add_co_u32_e32 v36, vcc, s10, v18
	v_addc_co_u32_e32 v37, vcc, v17, v35, vcc
	global_store_short v[36:37], v26, off
	s_or_b64 exec, exec, s[2:3]
	s_and_saveexec_b64 s[2:3], s[6:7]
	s_cbranch_execz .LBB29_8
.LBB29_24:                              ;   in Loop: Header=BB29_9 Depth=1
	v_and_b32_e32 v26, 0xffff0000, v27
	s_waitcnt vmcnt(0)
	v_lshlrev_b32_e32 v27, 16, v38
	v_sub_f32_e32 v35, v27, v26
	v_fmac_f32_e32 v26, s24, v35
	v_fma_f32 v27, -v25, v35, v27
	v_cndmask_b32_e64 v26, v27, v26, s[0:1]
	v_bfe_u32 v27, v26, 16, 1
	v_add3_u32 v27, v26, v27, s23
	v_lshrrev_b32_e32 v27, 16, v27
	v_cmp_o_f32_e32 vcc, v26, v26
	v_cndmask_b32_e32 v35, v34, v27, vcc
	v_mov_b32_e32 v27, s11
	v_add_co_u32_e32 v26, vcc, s10, v12
	v_addc_co_u32_e32 v27, vcc, v11, v27, vcc
	global_store_short v[26:27], v35, off
	s_branch .LBB29_8
.LBB29_25:
	s_endpgm
	.section	.rodata,"a",@progbits
	.p2align	6, 0x0
	.amdhsa_kernel _ZN2at6native12_GLOBAL__N_125multi_tensor_apply_kernelINS1_28TensorListScalarListMetadataIfLi3EEENS1_26TernaryOpScalarListFunctorIN3c108BFloat16ELi3ELi2ELi2EEEJNS0_11LerpFunctorIfEEEEEvT_T0_DpT1_
		.amdhsa_group_segment_fixed_size 0
		.amdhsa_private_segment_fixed_size 0
		.amdhsa_kernarg_size 3592
		.amdhsa_user_sgpr_count 6
		.amdhsa_user_sgpr_private_segment_buffer 1
		.amdhsa_user_sgpr_dispatch_ptr 0
		.amdhsa_user_sgpr_queue_ptr 0
		.amdhsa_user_sgpr_kernarg_segment_ptr 1
		.amdhsa_user_sgpr_dispatch_id 0
		.amdhsa_user_sgpr_flat_scratch_init 0
		.amdhsa_user_sgpr_kernarg_preload_length 0
		.amdhsa_user_sgpr_kernarg_preload_offset 0
		.amdhsa_user_sgpr_private_segment_size 0
		.amdhsa_uses_dynamic_stack 0
		.amdhsa_system_sgpr_private_segment_wavefront_offset 0
		.amdhsa_system_sgpr_workgroup_id_x 1
		.amdhsa_system_sgpr_workgroup_id_y 0
		.amdhsa_system_sgpr_workgroup_id_z 0
		.amdhsa_system_sgpr_workgroup_info 0
		.amdhsa_system_vgpr_workitem_id 0
		.amdhsa_next_free_vgpr 42
		.amdhsa_next_free_sgpr 28
		.amdhsa_accum_offset 44
		.amdhsa_reserve_vcc 1
		.amdhsa_reserve_flat_scratch 0
		.amdhsa_float_round_mode_32 0
		.amdhsa_float_round_mode_16_64 0
		.amdhsa_float_denorm_mode_32 3
		.amdhsa_float_denorm_mode_16_64 3
		.amdhsa_dx10_clamp 1
		.amdhsa_ieee_mode 1
		.amdhsa_fp16_overflow 0
		.amdhsa_tg_split 0
		.amdhsa_exception_fp_ieee_invalid_op 0
		.amdhsa_exception_fp_denorm_src 0
		.amdhsa_exception_fp_ieee_div_zero 0
		.amdhsa_exception_fp_ieee_overflow 0
		.amdhsa_exception_fp_ieee_underflow 0
		.amdhsa_exception_fp_ieee_inexact 0
		.amdhsa_exception_int_div_zero 0
	.end_amdhsa_kernel
	.section	.text._ZN2at6native12_GLOBAL__N_125multi_tensor_apply_kernelINS1_28TensorListScalarListMetadataIfLi3EEENS1_26TernaryOpScalarListFunctorIN3c108BFloat16ELi3ELi2ELi2EEEJNS0_11LerpFunctorIfEEEEEvT_T0_DpT1_,"axG",@progbits,_ZN2at6native12_GLOBAL__N_125multi_tensor_apply_kernelINS1_28TensorListScalarListMetadataIfLi3EEENS1_26TernaryOpScalarListFunctorIN3c108BFloat16ELi3ELi2ELi2EEEJNS0_11LerpFunctorIfEEEEEvT_T0_DpT1_,comdat
.Lfunc_end29:
	.size	_ZN2at6native12_GLOBAL__N_125multi_tensor_apply_kernelINS1_28TensorListScalarListMetadataIfLi3EEENS1_26TernaryOpScalarListFunctorIN3c108BFloat16ELi3ELi2ELi2EEEJNS0_11LerpFunctorIfEEEEEvT_T0_DpT1_, .Lfunc_end29-_ZN2at6native12_GLOBAL__N_125multi_tensor_apply_kernelINS1_28TensorListScalarListMetadataIfLi3EEENS1_26TernaryOpScalarListFunctorIN3c108BFloat16ELi3ELi2ELi2EEEJNS0_11LerpFunctorIfEEEEEvT_T0_DpT1_
                                        ; -- End function
	.section	.AMDGPU.csdata,"",@progbits
; Kernel info:
; codeLenInByte = 2200
; NumSgprs: 32
; NumVgprs: 42
; NumAgprs: 0
; TotalNumVgprs: 42
; ScratchSize: 0
; MemoryBound: 0
; FloatMode: 240
; IeeeMode: 1
; LDSByteSize: 0 bytes/workgroup (compile time only)
; SGPRBlocks: 3
; VGPRBlocks: 5
; NumSGPRsForWavesPerEU: 32
; NumVGPRsForWavesPerEU: 42
; AccumOffset: 44
; Occupancy: 8
; WaveLimiterHint : 0
; COMPUTE_PGM_RSRC2:SCRATCH_EN: 0
; COMPUTE_PGM_RSRC2:USER_SGPR: 6
; COMPUTE_PGM_RSRC2:TRAP_HANDLER: 0
; COMPUTE_PGM_RSRC2:TGID_X_EN: 1
; COMPUTE_PGM_RSRC2:TGID_Y_EN: 0
; COMPUTE_PGM_RSRC2:TGID_Z_EN: 0
; COMPUTE_PGM_RSRC2:TIDIG_COMP_CNT: 0
; COMPUTE_PGM_RSRC3_GFX90A:ACCUM_OFFSET: 10
; COMPUTE_PGM_RSRC3_GFX90A:TG_SPLIT: 0
	.section	.text._ZN2at6native12_GLOBAL__N_125multi_tensor_apply_kernelINS1_28TensorListScalarListMetadataIdLi2EEENS1_26TernaryOpScalarListFunctorIdLi2ELi2ELi0EEEJNS0_11LerpFunctorIdEEEEEvT_T0_DpT1_,"axG",@progbits,_ZN2at6native12_GLOBAL__N_125multi_tensor_apply_kernelINS1_28TensorListScalarListMetadataIdLi2EEENS1_26TernaryOpScalarListFunctorIdLi2ELi2ELi0EEEJNS0_11LerpFunctorIdEEEEEvT_T0_DpT1_,comdat
	.globl	_ZN2at6native12_GLOBAL__N_125multi_tensor_apply_kernelINS1_28TensorListScalarListMetadataIdLi2EEENS1_26TernaryOpScalarListFunctorIdLi2ELi2ELi0EEEJNS0_11LerpFunctorIdEEEEEvT_T0_DpT1_ ; -- Begin function _ZN2at6native12_GLOBAL__N_125multi_tensor_apply_kernelINS1_28TensorListScalarListMetadataIdLi2EEENS1_26TernaryOpScalarListFunctorIdLi2ELi2ELi0EEEJNS0_11LerpFunctorIdEEEEEvT_T0_DpT1_
	.p2align	8
	.type	_ZN2at6native12_GLOBAL__N_125multi_tensor_apply_kernelINS1_28TensorListScalarListMetadataIdLi2EEENS1_26TernaryOpScalarListFunctorIdLi2ELi2ELi0EEEJNS0_11LerpFunctorIdEEEEEvT_T0_DpT1_,@function
_ZN2at6native12_GLOBAL__N_125multi_tensor_apply_kernelINS1_28TensorListScalarListMetadataIdLi2EEENS1_26TernaryOpScalarListFunctorIdLi2ELi2ELi0EEEJNS0_11LerpFunctorIdEEEEEvT_T0_DpT1_: ; @_ZN2at6native12_GLOBAL__N_125multi_tensor_apply_kernelINS1_28TensorListScalarListMetadataIdLi2EEENS1_26TernaryOpScalarListFunctorIdLi2ELi2ELi0EEEJNS0_11LerpFunctorIdEEEEEvT_T0_DpT1_
; %bb.0:
	v_mov_b32_e32 v1, s6
	global_load_ubyte v1, v1, s[4:5] offset:2048
	s_add_u32 s0, s4, s6
	s_mul_hi_u32 s1, s6, 3
	s_mul_i32 s6, s6, 3
	s_addc_u32 s2, s5, 0
	s_add_u32 s0, s0, s6
	s_addc_u32 s1, s2, s1
	s_load_dword s2, s[0:1], 0x940
	s_mov_b32 s1, 0
	s_mov_b32 s15, s1
	;; [unrolled: 1-line block ×3, first 2 shown]
	s_waitcnt lgkmcnt(0)
	s_ashr_i32 s3, s2, 31
	s_lshl_b64 s[12:13], s[2:3], 19
	s_waitcnt vmcnt(0)
	v_readfirstlane_b32 s0, v1
	s_lshl_b32 s0, s0, 3
	s_load_dwordx2 s[8:9], s[4:5], s0 offset:0x0
	s_load_dwordx2 s[10:11], s[4:5], s0 offset:0x600
	;; [unrolled: 1-line block ×4, first 2 shown]
	s_waitcnt lgkmcnt(0)
	s_add_u32 s24, s8, s12
	s_addc_u32 s25, s9, s13
	s_and_b32 s0, s24, 31
	s_add_u32 s26, s18, s12
	s_addc_u32 s27, s19, s13
	s_and_b32 s14, s16, 3
	s_and_b32 s6, s26, 31
	s_or_b64 s[14:15], s[0:1], s[14:15]
	s_or_b64 s[6:7], s[6:7], s[14:15]
	s_lshl_b64 s[2:3], s[2:3], 16
	s_sub_u32 s14, s16, s2
	s_subb_u32 s15, s17, s3
	s_cmp_eq_u64 s[6:7], 0
	s_mov_b64 s[2:3], -1
	s_cbranch_scc0 .LBB30_5
; %bb.1:
	v_mov_b32_e32 v3, 0
	v_lshlrev_b32_e32 v2, 2, v0
	v_cmp_gt_i64_e32 vcc, s[14:15], v[2:3]
	s_and_saveexec_b64 s[16:17], vcc
	s_cbranch_execz .LBB30_4
; %bb.2:
	s_load_dword s0, s[4:5], 0xe54
	v_cmp_lt_f64_e64 vcc, |s[10:11]|, 0.5
	v_add_f64 v[4:5], -s[10:11], 1.0
	v_lshlrev_b32_e32 v6, 5, v0
	s_mov_b64 s[20:21], 0
	s_waitcnt lgkmcnt(0)
	s_and_b32 s0, s0, 0xffff
	v_add_lshl_u32 v2, v0, s0, 2
	s_lshl_b32 s28, s0, 2
	s_lshl_b32 s29, s0, 5
	s_mov_b64 s[22:23], 0xffff
	v_mov_b32_e32 v1, s1
.LBB30_3:                               ; =>This Inner Loop Header: Depth=1
	v_mov_b32_e32 v7, s25
	v_add_co_u32_e64 v26, s[2:3], s24, v6
	v_mov_b32_e32 v8, s27
	v_add_co_u32_e64 v24, s[0:1], s26, v6
	v_addc_co_u32_e64 v27, s[2:3], 0, v7, s[2:3]
	v_addc_co_u32_e64 v25, s[0:1], 0, v8, s[0:1]
	global_load_dwordx4 v[8:11], v[26:27], off
	global_load_dwordx4 v[12:15], v[24:25], off
	global_load_dwordx4 v[16:19], v[26:27], off offset:16
	global_load_dwordx4 v[20:23], v[24:25], off offset:16
	v_cmp_le_i64_e64 s[0:1], s[14:15], v[2:3]
	v_cmp_lt_u64_e64 s[2:3], s[22:23], v[2:3]
	s_or_b64 s[0:1], s[0:1], s[2:3]
	s_add_u32 s24, s24, s29
	s_addc_u32 s25, s25, 0
	s_add_u32 s26, s26, s29
	s_addc_u32 s27, s27, 0
	v_add_co_u32_e64 v2, s[6:7], s28, v2
	s_and_b64 s[0:1], exec, s[0:1]
	v_addc_co_u32_e64 v3, s[6:7], v3, v1, s[6:7]
	s_or_b64 s[20:21], s[0:1], s[20:21]
	s_waitcnt vmcnt(2)
	v_add_f64 v[24:25], v[12:13], -v[8:9]
	v_add_f64 v[28:29], v[14:15], -v[10:11]
	s_waitcnt vmcnt(0)
	v_add_f64 v[30:31], v[20:21], -v[16:17]
	v_add_f64 v[32:33], v[22:23], -v[18:19]
	v_fmac_f64_e32 v[8:9], s[10:11], v[24:25]
	v_fma_f64 v[12:13], -v[4:5], v[24:25], v[12:13]
	v_fmac_f64_e32 v[10:11], s[10:11], v[28:29]
	v_fma_f64 v[14:15], -v[4:5], v[28:29], v[14:15]
	;; [unrolled: 2-line block ×4, first 2 shown]
	v_cndmask_b32_e32 v9, v13, v9, vcc
	v_cndmask_b32_e32 v8, v12, v8, vcc
	;; [unrolled: 1-line block ×8, first 2 shown]
	global_store_dwordx4 v[26:27], v[8:11], off
	global_store_dwordx4 v[26:27], v[12:15], off offset:16
	s_andn2_b64 exec, exec, s[20:21]
	s_cbranch_execnz .LBB30_3
.LBB30_4:
	s_or_b64 exec, exec, s[16:17]
	s_mov_b64 s[2:3], 0
.LBB30_5:
	s_andn2_b64 vcc, exec, s[2:3]
	s_cbranch_vccnz .LBB30_25
; %bb.6:
	v_cmp_lt_i64_e64 s[0:1], s[14:15], 1
	s_and_b64 vcc, exec, s[0:1]
	s_cbranch_vccnz .LBB30_25
; %bb.7:
	s_load_dword s0, s[4:5], 0xe54
	v_mov_b32_e32 v2, 0x10000
	v_mov_b32_e32 v3, 0
	v_cmp_lt_u64_e32 vcc, s[14:15], v[2:3]
	v_lshlrev_b32_e32 v12, 3, v0
	s_waitcnt lgkmcnt(0)
	s_and_b32 s4, s0, 0xffff
	s_and_b64 s[0:1], vcc, exec
	v_mov_b32_e32 v15, s9
	v_add_co_u32_e32 v4, vcc, s8, v12
	v_addc_co_u32_e32 v1, vcc, 0, v15, vcc
	v_mov_b32_e32 v13, 0
	v_mov_b32_e32 v17, s19
	v_add_co_u32_e32 v6, vcc, s18, v12
	v_addc_co_u32_e32 v5, vcc, 0, v17, vcc
	v_mad_u64_u32 v[10:11], s[2:3], s4, 24, v[12:13]
	v_add_co_u32_e32 v8, vcc, s8, v10
	v_addc_co_u32_e32 v7, vcc, v15, v11, vcc
	v_add_co_u32_e32 v10, vcc, s18, v10
	s_mul_i32 s6, s4, 3
	v_addc_co_u32_e32 v9, vcc, v17, v11, vcc
	v_add_co_u32_e32 v19, vcc, s6, v0
	v_addc_co_u32_e64 v36, s[2:3], 0, 0, vcc
	s_cselect_b32 s17, s15, 0
	s_cselect_b32 s16, s14, 0x10000
	s_lshl_b32 s2, s4, 4
	v_add_co_u32_e32 v13, vcc, s2, v12
	v_addc_co_u32_e64 v16, s[2:3], 0, 0, vcc
	v_add_co_u32_e32 v12, vcc, s8, v13
	v_addc_co_u32_e32 v11, vcc, v15, v16, vcc
	v_add_co_u32_e32 v14, vcc, s18, v13
	s_lshl_b32 s5, s4, 1
	v_addc_co_u32_e32 v13, vcc, v17, v16, vcc
	v_add_co_u32_e32 v37, vcc, s5, v0
	v_addc_co_u32_e64 v38, s[2:3], 0, 0, vcc
	v_add_co_u32_e32 v39, vcc, s4, v0
	v_lshlrev_b32_e32 v18, 3, v39
	v_addc_co_u32_e64 v40, s[2:3], 0, 0, vcc
	v_add_co_u32_e32 v16, vcc, s8, v18
	v_addc_co_u32_e32 v15, vcc, 0, v15, vcc
	v_add_co_u32_e32 v18, vcc, s18, v18
	s_mov_b32 s22, 0
	v_cmp_lt_f64_e64 s[0:1], |s[10:11]|, 0.5
	v_add_f64 v[2:3], -s[10:11], 1.0
	s_lshl_b32 s23, s4, 2
	s_lshl_b32 s24, s4, 5
	v_addc_co_u32_e32 v17, vcc, 0, v17, vcc
	s_mov_b64 s[18:19], 0
	s_branch .LBB30_9
.LBB30_8:                               ;   in Loop: Header=BB30_9 Depth=1
	s_or_b64 exec, exec, s[2:3]
	s_add_u32 s18, s18, s23
	s_addc_u32 s19, s19, 0
	s_waitcnt vmcnt(1)
	v_pk_mov_b32 v[20:21], s[14:15], s[14:15] op_sel:[0,1]
	v_cmp_ge_i64_e32 vcc, s[18:19], v[20:21]
	v_mov_b32_e32 v20, 0xffff
	v_mov_b32_e32 v21, 0
	v_cmp_gt_u64_e64 s[2:3], s[18:19], v[20:21]
	s_or_b64 s[2:3], vcc, s[2:3]
	v_mov_b32_e32 v20, s22
	v_add_co_u32_e32 v4, vcc, s24, v4
	v_addc_co_u32_e32 v1, vcc, v1, v20, vcc
	v_add_co_u32_e32 v6, vcc, s24, v6
	v_addc_co_u32_e32 v5, vcc, v5, v20, vcc
	;; [unrolled: 2-line block ×8, first 2 shown]
	s_and_b64 vcc, exec, s[2:3]
	s_cbranch_vccnz .LBB30_25
.LBB30_9:                               ; =>This Inner Loop Header: Depth=1
	v_mov_b32_e32 v21, s19
	v_add_co_u32_e32 v20, vcc, s18, v0
	v_addc_co_u32_e32 v21, vcc, 0, v21, vcc
	v_cmp_gt_u64_e32 vcc, s[16:17], v[20:21]
	v_pk_mov_b32 v[20:21], 0, 0
	v_pk_mov_b32 v[22:23], v[20:21], v[20:21] op_sel:[0,1]
	s_waitcnt vmcnt(0)
	v_pk_mov_b32 v[24:25], v[20:21], v[20:21] op_sel:[0,1]
	s_and_saveexec_b64 s[4:5], vcc
	s_cbranch_execz .LBB30_11
; %bb.10:                               ;   in Loop: Header=BB30_9 Depth=1
	v_mov_b32_e32 v22, s13
	v_add_co_u32_e64 v26, s[2:3], s12, v6
	v_addc_co_u32_e64 v27, s[2:3], v5, v22, s[2:3]
	v_add_co_u32_e64 v28, s[2:3], s12, v4
	v_addc_co_u32_e64 v29, s[2:3], v1, v22, s[2:3]
	global_load_dwordx2 v[22:23], v[28:29], off
	global_load_dwordx2 v[24:25], v[26:27], off
.LBB30_11:                              ;   in Loop: Header=BB30_9 Depth=1
	s_or_b64 exec, exec, s[4:5]
	v_mov_b32_e32 v27, s19
	v_add_co_u32_e64 v26, s[2:3], s18, v39
	v_addc_co_u32_e64 v27, s[2:3], v40, v27, s[2:3]
	v_cmp_gt_u64_e64 s[2:3], s[16:17], v[26:27]
	v_pk_mov_b32 v[28:29], v[20:21], v[20:21] op_sel:[0,1]
	s_and_saveexec_b64 s[6:7], s[2:3]
	s_cbranch_execz .LBB30_13
; %bb.12:                               ;   in Loop: Header=BB30_9 Depth=1
	v_mov_b32_e32 v20, s13
	v_add_co_u32_e64 v26, s[4:5], s12, v18
	v_addc_co_u32_e64 v27, s[4:5], v17, v20, s[4:5]
	v_add_co_u32_e64 v30, s[4:5], s12, v16
	v_addc_co_u32_e64 v31, s[4:5], v15, v20, s[4:5]
	global_load_dwordx2 v[20:21], v[30:31], off
	global_load_dwordx2 v[28:29], v[26:27], off
.LBB30_13:                              ;   in Loop: Header=BB30_9 Depth=1
	s_or_b64 exec, exec, s[6:7]
	v_mov_b32_e32 v27, s19
	v_add_co_u32_e64 v26, s[4:5], s18, v37
	v_addc_co_u32_e64 v27, s[4:5], v38, v27, s[4:5]
	v_cmp_gt_u64_e64 s[4:5], s[16:17], v[26:27]
	v_pk_mov_b32 v[26:27], 0, 0
	v_pk_mov_b32 v[30:31], v[26:27], v[26:27] op_sel:[0,1]
	v_pk_mov_b32 v[32:33], v[26:27], v[26:27] op_sel:[0,1]
	s_and_saveexec_b64 s[8:9], s[4:5]
	s_cbranch_execz .LBB30_15
; %bb.14:                               ;   in Loop: Header=BB30_9 Depth=1
	v_mov_b32_e32 v30, s13
	v_add_co_u32_e64 v34, s[6:7], s12, v14
	v_addc_co_u32_e64 v35, s[6:7], v13, v30, s[6:7]
	v_add_co_u32_e64 v42, s[6:7], s12, v12
	v_addc_co_u32_e64 v43, s[6:7], v11, v30, s[6:7]
	global_load_dwordx2 v[30:31], v[42:43], off
	global_load_dwordx2 v[32:33], v[34:35], off
.LBB30_15:                              ;   in Loop: Header=BB30_9 Depth=1
	s_or_b64 exec, exec, s[8:9]
	v_mov_b32_e32 v35, s19
	v_add_co_u32_e64 v34, s[6:7], s18, v19
	v_addc_co_u32_e64 v35, s[6:7], v36, v35, s[6:7]
	v_cmp_gt_u64_e64 s[6:7], s[16:17], v[34:35]
	v_pk_mov_b32 v[34:35], v[26:27], v[26:27] op_sel:[0,1]
	s_and_saveexec_b64 s[20:21], s[6:7]
	s_cbranch_execnz .LBB30_20
; %bb.16:                               ;   in Loop: Header=BB30_9 Depth=1
	s_or_b64 exec, exec, s[20:21]
	s_and_saveexec_b64 s[8:9], vcc
	s_cbranch_execnz .LBB30_21
.LBB30_17:                              ;   in Loop: Header=BB30_9 Depth=1
	s_or_b64 exec, exec, s[8:9]
	s_and_saveexec_b64 s[8:9], s[2:3]
	s_cbranch_execnz .LBB30_22
.LBB30_18:                              ;   in Loop: Header=BB30_9 Depth=1
	s_or_b64 exec, exec, s[8:9]
	s_and_saveexec_b64 s[2:3], s[4:5]
	s_cbranch_execnz .LBB30_23
.LBB30_19:                              ;   in Loop: Header=BB30_9 Depth=1
	s_or_b64 exec, exec, s[2:3]
	s_and_saveexec_b64 s[2:3], s[6:7]
	s_cbranch_execz .LBB30_8
	s_branch .LBB30_24
.LBB30_20:                              ;   in Loop: Header=BB30_9 Depth=1
	v_mov_b32_e32 v26, s13
	v_add_co_u32_e64 v42, s[8:9], s12, v10
	v_addc_co_u32_e64 v43, s[8:9], v9, v26, s[8:9]
	v_add_co_u32_e64 v44, s[8:9], s12, v8
	v_addc_co_u32_e64 v45, s[8:9], v7, v26, s[8:9]
	global_load_dwordx2 v[26:27], v[44:45], off
	global_load_dwordx2 v[34:35], v[42:43], off
	s_or_b64 exec, exec, s[20:21]
	s_and_saveexec_b64 s[8:9], vcc
	s_cbranch_execz .LBB30_17
.LBB30_21:                              ;   in Loop: Header=BB30_9 Depth=1
	s_waitcnt vmcnt(0)
	v_add_f64 v[44:45], v[24:25], -v[22:23]
	v_mov_b32_e32 v41, s13
	v_add_co_u32_e32 v42, vcc, s12, v4
	v_fmac_f64_e32 v[22:23], s[10:11], v[44:45]
	v_fma_f64 v[24:25], -v[2:3], v[44:45], v[24:25]
	v_addc_co_u32_e32 v43, vcc, v1, v41, vcc
	v_cndmask_b32_e64 v23, v25, v23, s[0:1]
	v_cndmask_b32_e64 v22, v24, v22, s[0:1]
	global_store_dwordx2 v[42:43], v[22:23], off
	s_or_b64 exec, exec, s[8:9]
	s_and_saveexec_b64 s[8:9], s[2:3]
	s_cbranch_execz .LBB30_18
.LBB30_22:                              ;   in Loop: Header=BB30_9 Depth=1
	s_waitcnt vmcnt(0)
	v_add_f64 v[22:23], v[28:29], -v[20:21]
	v_fmac_f64_e32 v[20:21], s[10:11], v[22:23]
	v_fma_f64 v[22:23], -v[2:3], v[22:23], v[28:29]
	v_cndmask_b32_e64 v21, v23, v21, s[0:1]
	v_cndmask_b32_e64 v20, v22, v20, s[0:1]
	v_mov_b32_e32 v23, s13
	v_add_co_u32_e32 v22, vcc, s12, v16
	v_addc_co_u32_e32 v23, vcc, v15, v23, vcc
	global_store_dwordx2 v[22:23], v[20:21], off
	s_or_b64 exec, exec, s[8:9]
	s_and_saveexec_b64 s[2:3], s[4:5]
	s_cbranch_execz .LBB30_19
.LBB30_23:                              ;   in Loop: Header=BB30_9 Depth=1
	s_waitcnt vmcnt(0)
	v_add_f64 v[20:21], v[32:33], -v[30:31]
	v_fmac_f64_e32 v[30:31], s[10:11], v[20:21]
	v_fma_f64 v[20:21], -v[2:3], v[20:21], v[32:33]
	v_mov_b32_e32 v23, s13
	v_add_co_u32_e32 v22, vcc, s12, v12
	v_cndmask_b32_e64 v21, v21, v31, s[0:1]
	v_cndmask_b32_e64 v20, v20, v30, s[0:1]
	v_addc_co_u32_e32 v23, vcc, v11, v23, vcc
	global_store_dwordx2 v[22:23], v[20:21], off
	s_or_b64 exec, exec, s[2:3]
	s_and_saveexec_b64 s[2:3], s[6:7]
	s_cbranch_execz .LBB30_8
.LBB30_24:                              ;   in Loop: Header=BB30_9 Depth=1
	s_waitcnt vmcnt(0)
	v_add_f64 v[20:21], v[34:35], -v[26:27]
	v_fmac_f64_e32 v[26:27], s[10:11], v[20:21]
	v_fma_f64 v[20:21], -v[2:3], v[20:21], v[34:35]
	v_mov_b32_e32 v23, s13
	v_add_co_u32_e32 v22, vcc, s12, v8
	v_cndmask_b32_e64 v21, v21, v27, s[0:1]
	v_cndmask_b32_e64 v20, v20, v26, s[0:1]
	v_addc_co_u32_e32 v23, vcc, v7, v23, vcc
	global_store_dwordx2 v[22:23], v[20:21], off
	s_branch .LBB30_8
.LBB30_25:
	s_endpgm
	.section	.rodata,"a",@progbits
	.p2align	6, 0x0
	.amdhsa_kernel _ZN2at6native12_GLOBAL__N_125multi_tensor_apply_kernelINS1_28TensorListScalarListMetadataIdLi2EEENS1_26TernaryOpScalarListFunctorIdLi2ELi2ELi0EEEJNS0_11LerpFunctorIdEEEEEvT_T0_DpT1_
		.amdhsa_group_segment_fixed_size 0
		.amdhsa_private_segment_fixed_size 0
		.amdhsa_kernarg_size 3912
		.amdhsa_user_sgpr_count 6
		.amdhsa_user_sgpr_private_segment_buffer 1
		.amdhsa_user_sgpr_dispatch_ptr 0
		.amdhsa_user_sgpr_queue_ptr 0
		.amdhsa_user_sgpr_kernarg_segment_ptr 1
		.amdhsa_user_sgpr_dispatch_id 0
		.amdhsa_user_sgpr_flat_scratch_init 0
		.amdhsa_user_sgpr_kernarg_preload_length 0
		.amdhsa_user_sgpr_kernarg_preload_offset 0
		.amdhsa_user_sgpr_private_segment_size 0
		.amdhsa_uses_dynamic_stack 0
		.amdhsa_system_sgpr_private_segment_wavefront_offset 0
		.amdhsa_system_sgpr_workgroup_id_x 1
		.amdhsa_system_sgpr_workgroup_id_y 0
		.amdhsa_system_sgpr_workgroup_id_z 0
		.amdhsa_system_sgpr_workgroup_info 0
		.amdhsa_system_vgpr_workitem_id 0
		.amdhsa_next_free_vgpr 46
		.amdhsa_next_free_sgpr 30
		.amdhsa_accum_offset 48
		.amdhsa_reserve_vcc 1
		.amdhsa_reserve_flat_scratch 0
		.amdhsa_float_round_mode_32 0
		.amdhsa_float_round_mode_16_64 0
		.amdhsa_float_denorm_mode_32 3
		.amdhsa_float_denorm_mode_16_64 3
		.amdhsa_dx10_clamp 1
		.amdhsa_ieee_mode 1
		.amdhsa_fp16_overflow 0
		.amdhsa_tg_split 0
		.amdhsa_exception_fp_ieee_invalid_op 0
		.amdhsa_exception_fp_denorm_src 0
		.amdhsa_exception_fp_ieee_div_zero 0
		.amdhsa_exception_fp_ieee_overflow 0
		.amdhsa_exception_fp_ieee_underflow 0
		.amdhsa_exception_fp_ieee_inexact 0
		.amdhsa_exception_int_div_zero 0
	.end_amdhsa_kernel
	.section	.text._ZN2at6native12_GLOBAL__N_125multi_tensor_apply_kernelINS1_28TensorListScalarListMetadataIdLi2EEENS1_26TernaryOpScalarListFunctorIdLi2ELi2ELi0EEEJNS0_11LerpFunctorIdEEEEEvT_T0_DpT1_,"axG",@progbits,_ZN2at6native12_GLOBAL__N_125multi_tensor_apply_kernelINS1_28TensorListScalarListMetadataIdLi2EEENS1_26TernaryOpScalarListFunctorIdLi2ELi2ELi0EEEJNS0_11LerpFunctorIdEEEEEvT_T0_DpT1_,comdat
.Lfunc_end30:
	.size	_ZN2at6native12_GLOBAL__N_125multi_tensor_apply_kernelINS1_28TensorListScalarListMetadataIdLi2EEENS1_26TernaryOpScalarListFunctorIdLi2ELi2ELi0EEEJNS0_11LerpFunctorIdEEEEEvT_T0_DpT1_, .Lfunc_end30-_ZN2at6native12_GLOBAL__N_125multi_tensor_apply_kernelINS1_28TensorListScalarListMetadataIdLi2EEENS1_26TernaryOpScalarListFunctorIdLi2ELi2ELi0EEEJNS0_11LerpFunctorIdEEEEEvT_T0_DpT1_
                                        ; -- End function
	.section	.AMDGPU.csdata,"",@progbits
; Kernel info:
; codeLenInByte = 1712
; NumSgprs: 34
; NumVgprs: 46
; NumAgprs: 0
; TotalNumVgprs: 46
; ScratchSize: 0
; MemoryBound: 0
; FloatMode: 240
; IeeeMode: 1
; LDSByteSize: 0 bytes/workgroup (compile time only)
; SGPRBlocks: 4
; VGPRBlocks: 5
; NumSGPRsForWavesPerEU: 34
; NumVGPRsForWavesPerEU: 46
; AccumOffset: 48
; Occupancy: 8
; WaveLimiterHint : 1
; COMPUTE_PGM_RSRC2:SCRATCH_EN: 0
; COMPUTE_PGM_RSRC2:USER_SGPR: 6
; COMPUTE_PGM_RSRC2:TRAP_HANDLER: 0
; COMPUTE_PGM_RSRC2:TGID_X_EN: 1
; COMPUTE_PGM_RSRC2:TGID_Y_EN: 0
; COMPUTE_PGM_RSRC2:TGID_Z_EN: 0
; COMPUTE_PGM_RSRC2:TIDIG_COMP_CNT: 0
; COMPUTE_PGM_RSRC3_GFX90A:ACCUM_OFFSET: 11
; COMPUTE_PGM_RSRC3_GFX90A:TG_SPLIT: 0
	.section	.text._ZN2at6native12_GLOBAL__N_125multi_tensor_apply_kernelINS1_28TensorListScalarListMetadataIfLi2EEENS1_26TernaryOpScalarListFunctorIfLi2ELi2ELi0EEEJNS0_11LerpFunctorIfEEEEEvT_T0_DpT1_,"axG",@progbits,_ZN2at6native12_GLOBAL__N_125multi_tensor_apply_kernelINS1_28TensorListScalarListMetadataIfLi2EEENS1_26TernaryOpScalarListFunctorIfLi2ELi2ELi0EEEJNS0_11LerpFunctorIfEEEEEvT_T0_DpT1_,comdat
	.globl	_ZN2at6native12_GLOBAL__N_125multi_tensor_apply_kernelINS1_28TensorListScalarListMetadataIfLi2EEENS1_26TernaryOpScalarListFunctorIfLi2ELi2ELi0EEEJNS0_11LerpFunctorIfEEEEEvT_T0_DpT1_ ; -- Begin function _ZN2at6native12_GLOBAL__N_125multi_tensor_apply_kernelINS1_28TensorListScalarListMetadataIfLi2EEENS1_26TernaryOpScalarListFunctorIfLi2ELi2ELi0EEEJNS0_11LerpFunctorIfEEEEEvT_T0_DpT1_
	.p2align	8
	.type	_ZN2at6native12_GLOBAL__N_125multi_tensor_apply_kernelINS1_28TensorListScalarListMetadataIfLi2EEENS1_26TernaryOpScalarListFunctorIfLi2ELi2ELi0EEEJNS0_11LerpFunctorIfEEEEEvT_T0_DpT1_,@function
_ZN2at6native12_GLOBAL__N_125multi_tensor_apply_kernelINS1_28TensorListScalarListMetadataIfLi2EEENS1_26TernaryOpScalarListFunctorIfLi2ELi2ELi0EEEJNS0_11LerpFunctorIfEEEEEvT_T0_DpT1_: ; @_ZN2at6native12_GLOBAL__N_125multi_tensor_apply_kernelINS1_28TensorListScalarListMetadataIfLi2EEENS1_26TernaryOpScalarListFunctorIfLi2ELi2ELi0EEEJNS0_11LerpFunctorIfEEEEEvT_T0_DpT1_
; %bb.0:
	v_mov_b32_e32 v1, s6
	global_load_ubyte v1, v1, s[4:5] offset:1792
	s_add_u32 s0, s4, s6
	s_mul_hi_u32 s1, s6, 3
	s_mul_i32 s6, s6, 3
	s_addc_u32 s2, s5, 0
	s_add_u32 s0, s0, s6
	s_addc_u32 s1, s2, s1
	s_load_dword s0, s[0:1], 0x840
	s_mov_b32 s3, 0
	s_waitcnt vmcnt(0)
	v_readfirstlane_b32 s1, v1
	s_lshl_b32 s2, s1, 3
	s_load_dwordx2 s[6:7], s[4:5], s2 offset:0x400
	s_waitcnt lgkmcnt(0)
	s_ashr_i32 s1, s0, 31
	s_load_dwordx2 s[18:19], s[4:5], s2 offset:0x0
	s_load_dwordx2 s[8:9], s[4:5], s2 offset:0x200
	s_add_u32 s2, s4, s2
	v_lshlrev_b32_e32 v1, 2, v1
	s_addc_u32 s12, s5, 0
	v_mov_b32_e32 v3, s12
	v_sub_co_u32_e32 v2, vcc, s2, v1
	v_subbrev_co_u32_e32 v1, vcc, 0, v3, vcc
	v_readfirstlane_b32 s12, v2
	s_waitcnt lgkmcnt(0)
	s_and_b32 s2, s18, 15
	s_and_b32 s15, s6, 3
	v_readfirstlane_b32 s13, v1
	s_and_b32 s14, s8, 15
	s_or_b32 s2, s2, s15
	s_load_dword s12, s[12:13], 0x600
	s_lshl_b64 s[10:11], s[0:1], 18
	s_lshl_b64 s[0:1], s[0:1], 16
	s_or_b32 s2, s14, s2
	s_sub_u32 s14, s6, s0
	s_subb_u32 s15, s7, s1
	s_cmp_eq_u64 s[2:3], 0
	s_mov_b64 s[0:1], -1
	s_cbranch_scc0 .LBB31_5
; %bb.1:
	v_mov_b32_e32 v3, 0
	v_lshlrev_b32_e32 v2, 2, v0
	v_cmp_gt_i64_e32 vcc, s[14:15], v[2:3]
	s_and_saveexec_b64 s[16:17], vcc
	s_cbranch_execz .LBB31_4
; %bb.2:
	s_load_dword s0, s[4:5], 0xd54
	s_waitcnt lgkmcnt(0)
	v_sub_f32_e64 v4, 1.0, s12
	v_lshlrev_b32_e32 v1, 4, v0
	v_mov_b32_e32 v2, s11
	v_xor_b32_e32 v8, 0x80000000, v4
	s_and_b32 s2, s0, 0xffff
	v_add_co_u32_e64 v6, s[0:1], s10, v1
	v_cmp_lt_f32_e64 vcc, |s12|, 0.5
	s_mov_b32 s13, s12
	s_mov_b32 s20, s12
	;; [unrolled: 1-line block ×3, first 2 shown]
	v_mov_b32_e32 v5, v4
	v_addc_co_u32_e64 v1, s[0:1], 0, v2, s[0:1]
	s_lshl_b32 s26, s2, 4
	v_add_lshl_u32 v2, v0, s2, 2
	s_lshl_b32 s27, s2, 2
	s_mov_b64 s[22:23], 0
	v_mov_b32_e32 v7, s19
	v_mov_b32_e32 v10, s9
	;; [unrolled: 1-line block ×3, first 2 shown]
	s_mov_b64 s[24:25], 0xffff
	v_mov_b32_e32 v11, s3
	v_mov_b32_e32 v12, s3
.LBB31_3:                               ; =>This Inner Loop Header: Depth=1
	v_add_co_u32_e64 v22, s[0:1], s18, v6
	v_addc_co_u32_e64 v23, s[0:1], v7, v1, s[0:1]
	v_add_co_u32_e64 v24, s[0:1], s8, v6
	v_addc_co_u32_e64 v25, s[0:1], v10, v1, s[0:1]
	global_load_dwordx4 v[14:17], v[22:23], off
	global_load_dwordx4 v[18:21], v[24:25], off
	v_cmp_le_i64_e64 s[0:1], s[14:15], v[2:3]
	v_cmp_lt_u64_e64 s[2:3], s[24:25], v[2:3]
	v_add_co_u32_e64 v6, s[6:7], s26, v6
	v_addc_co_u32_e64 v1, s[6:7], v1, v11, s[6:7]
	s_or_b64 s[0:1], s[0:1], s[2:3]
	v_add_co_u32_e64 v2, s[6:7], s27, v2
	s_and_b64 s[0:1], exec, s[0:1]
	v_addc_co_u32_e64 v3, s[6:7], v3, v12, s[6:7]
	s_or_b64 s[22:23], s[0:1], s[22:23]
	s_waitcnt vmcnt(0)
	v_sub_f32_e32 v25, v21, v17
	v_sub_f32_e32 v24, v20, v16
	;; [unrolled: 1-line block ×4, first 2 shown]
	v_pk_fma_f32 v[14:15], s[12:13], v[26:27], v[14:15]
	v_pk_fma_f32 v[16:17], s[20:21], v[24:25], v[16:17]
	v_pk_fma_f32 v[18:19], v[4:5], v[26:27], v[18:19] neg_lo:[1,0,0] neg_hi:[1,0,0]
	v_pk_fma_f32 v[20:21], v[8:9], v[24:25], v[20:21]
	v_cndmask_b32_e32 v17, v21, v17, vcc
	v_cndmask_b32_e32 v16, v20, v16, vcc
	;; [unrolled: 1-line block ×4, first 2 shown]
	global_store_dwordx4 v[22:23], v[14:17], off
	s_andn2_b64 exec, exec, s[22:23]
	s_cbranch_execnz .LBB31_3
.LBB31_4:
	s_or_b64 exec, exec, s[16:17]
	s_mov_b64 s[0:1], 0
.LBB31_5:
	s_andn2_b64 vcc, exec, s[0:1]
	s_cbranch_vccnz .LBB31_25
; %bb.6:
	v_cmp_lt_i64_e64 s[0:1], s[14:15], 1
	s_and_b64 vcc, exec, s[0:1]
	s_cbranch_vccnz .LBB31_25
; %bb.7:
	s_load_dword s0, s[4:5], 0xd54
	v_mov_b32_e32 v2, 0x10000
	v_mov_b32_e32 v3, 0
	v_cmp_lt_u64_e32 vcc, s[14:15], v[2:3]
	v_lshlrev_b32_e32 v10, 2, v0
	s_waitcnt lgkmcnt(0)
	s_and_b32 s4, s0, 0xffff
	s_and_b64 s[0:1], vcc, exec
	v_mov_b32_e32 v13, s19
	v_add_co_u32_e32 v2, vcc, s18, v10
	v_addc_co_u32_e32 v1, vcc, 0, v13, vcc
	v_mov_b32_e32 v11, 0
	v_mov_b32_e32 v15, s9
	v_add_co_u32_e32 v4, vcc, s8, v10
	v_addc_co_u32_e32 v3, vcc, 0, v15, vcc
	v_mad_u64_u32 v[8:9], s[2:3], s4, 12, v[10:11]
	v_add_co_u32_e32 v6, vcc, s18, v8
	v_addc_co_u32_e32 v5, vcc, v13, v9, vcc
	v_add_co_u32_e32 v8, vcc, s8, v8
	s_mul_i32 s6, s4, 3
	v_addc_co_u32_e32 v7, vcc, v15, v9, vcc
	v_add_co_u32_e32 v18, vcc, s6, v0
	v_addc_co_u32_e64 v19, s[2:3], 0, 0, vcc
	s_cselect_b32 s17, s15, 0
	s_cselect_b32 s16, s14, 0x10000
	s_lshl_b32 s2, s4, 3
	v_add_co_u32_e32 v11, vcc, s2, v10
	v_addc_co_u32_e64 v14, s[2:3], 0, 0, vcc
	v_add_co_u32_e32 v10, vcc, s18, v11
	v_addc_co_u32_e32 v9, vcc, v13, v14, vcc
	v_add_co_u32_e32 v12, vcc, s8, v11
	s_lshl_b32 s5, s4, 1
	v_addc_co_u32_e32 v11, vcc, v15, v14, vcc
	v_add_co_u32_e32 v20, vcc, s5, v0
	v_addc_co_u32_e64 v21, s[2:3], 0, 0, vcc
	v_add_co_u32_e32 v22, vcc, s4, v0
	v_lshlrev_b32_e32 v16, 2, v22
	v_addc_co_u32_e64 v23, s[2:3], 0, 0, vcc
	v_add_co_u32_e32 v14, vcc, s18, v16
	v_addc_co_u32_e32 v13, vcc, 0, v13, vcc
	v_add_co_u32_e32 v16, vcc, s8, v16
	s_mov_b32 s13, 0
	v_cmp_lt_f32_e64 s[0:1], |s12|, 0.5
	v_sub_f32_e64 v17, 1.0, s12
	s_lshl_b32 s22, s4, 2
	s_lshl_b32 s23, s4, 4
	v_addc_co_u32_e32 v15, vcc, 0, v15, vcc
	s_mov_b64 s[18:19], 0
	s_branch .LBB31_9
.LBB31_8:                               ;   in Loop: Header=BB31_9 Depth=1
	s_or_b64 exec, exec, s[2:3]
	s_add_u32 s18, s18, s22
	s_addc_u32 s19, s19, 0
	s_waitcnt vmcnt(1)
	v_pk_mov_b32 v[24:25], s[14:15], s[14:15] op_sel:[0,1]
	v_cmp_ge_i64_e32 vcc, s[18:19], v[24:25]
	v_mov_b32_e32 v24, 0xffff
	v_mov_b32_e32 v25, 0
	v_cmp_gt_u64_e64 s[2:3], s[18:19], v[24:25]
	s_or_b64 s[2:3], vcc, s[2:3]
	v_mov_b32_e32 v24, s13
	v_add_co_u32_e32 v2, vcc, s23, v2
	v_addc_co_u32_e32 v1, vcc, v1, v24, vcc
	v_add_co_u32_e32 v4, vcc, s23, v4
	v_addc_co_u32_e32 v3, vcc, v3, v24, vcc
	;; [unrolled: 2-line block ×8, first 2 shown]
	s_and_b64 vcc, exec, s[2:3]
	s_cbranch_vccnz .LBB31_25
.LBB31_9:                               ; =>This Inner Loop Header: Depth=1
	v_mov_b32_e32 v25, s19
	v_add_co_u32_e32 v24, vcc, s18, v0
	v_addc_co_u32_e32 v25, vcc, 0, v25, vcc
	v_cmp_gt_u64_e32 vcc, s[16:17], v[24:25]
	v_mov_b32_e32 v24, 0
	s_waitcnt vmcnt(0)
	v_mov_b32_e32 v26, 0
	s_and_saveexec_b64 s[4:5], vcc
	s_cbranch_execz .LBB31_11
; %bb.10:                               ;   in Loop: Header=BB31_9 Depth=1
	v_mov_b32_e32 v24, s11
	v_add_co_u32_e64 v28, s[2:3], s10, v4
	v_addc_co_u32_e64 v29, s[2:3], v3, v24, s[2:3]
	v_add_co_u32_e64 v30, s[2:3], s10, v2
	v_addc_co_u32_e64 v31, s[2:3], v1, v24, s[2:3]
	global_load_dword v24, v[30:31], off
	global_load_dword v26, v[28:29], off
.LBB31_11:                              ;   in Loop: Header=BB31_9 Depth=1
	s_or_b64 exec, exec, s[4:5]
	v_mov_b32_e32 v25, s19
	v_add_co_u32_e64 v28, s[2:3], s18, v22
	v_addc_co_u32_e64 v29, s[2:3], v23, v25, s[2:3]
	v_cmp_gt_u64_e64 s[2:3], s[16:17], v[28:29]
	v_mov_b32_e32 v25, 0
	v_mov_b32_e32 v27, 0
	;; [unrolled: 1-line block ×3, first 2 shown]
	s_and_saveexec_b64 s[6:7], s[2:3]
	s_cbranch_execz .LBB31_13
; %bb.12:                               ;   in Loop: Header=BB31_9 Depth=1
	v_mov_b32_e32 v27, s11
	v_add_co_u32_e64 v30, s[4:5], s10, v16
	v_addc_co_u32_e64 v31, s[4:5], v15, v27, s[4:5]
	v_add_co_u32_e64 v32, s[4:5], s10, v14
	v_addc_co_u32_e64 v33, s[4:5], v13, v27, s[4:5]
	global_load_dword v27, v[32:33], off
	global_load_dword v28, v[30:31], off
.LBB31_13:                              ;   in Loop: Header=BB31_9 Depth=1
	s_or_b64 exec, exec, s[6:7]
	v_mov_b32_e32 v29, s19
	v_add_co_u32_e64 v30, s[4:5], s18, v20
	v_addc_co_u32_e64 v31, s[4:5], v21, v29, s[4:5]
	v_cmp_gt_u64_e64 s[4:5], s[16:17], v[30:31]
	v_mov_b32_e32 v29, 0
	s_and_saveexec_b64 s[8:9], s[4:5]
	s_cbranch_execz .LBB31_15
; %bb.14:                               ;   in Loop: Header=BB31_9 Depth=1
	v_mov_b32_e32 v25, s11
	v_add_co_u32_e64 v30, s[6:7], s10, v12
	v_addc_co_u32_e64 v31, s[6:7], v11, v25, s[6:7]
	v_add_co_u32_e64 v32, s[6:7], s10, v10
	v_addc_co_u32_e64 v33, s[6:7], v9, v25, s[6:7]
	global_load_dword v25, v[32:33], off
	global_load_dword v29, v[30:31], off
.LBB31_15:                              ;   in Loop: Header=BB31_9 Depth=1
	s_or_b64 exec, exec, s[8:9]
	v_mov_b32_e32 v31, s19
	v_add_co_u32_e64 v30, s[6:7], s18, v18
	v_addc_co_u32_e64 v31, s[6:7], v19, v31, s[6:7]
	v_cmp_gt_u64_e64 s[6:7], s[16:17], v[30:31]
	v_mov_b32_e32 v30, 0
	v_mov_b32_e32 v31, 0
	s_and_saveexec_b64 s[20:21], s[6:7]
	s_cbranch_execnz .LBB31_20
; %bb.16:                               ;   in Loop: Header=BB31_9 Depth=1
	s_or_b64 exec, exec, s[20:21]
	s_and_saveexec_b64 s[8:9], vcc
	s_cbranch_execnz .LBB31_21
.LBB31_17:                              ;   in Loop: Header=BB31_9 Depth=1
	s_or_b64 exec, exec, s[8:9]
	s_and_saveexec_b64 s[8:9], s[2:3]
	s_cbranch_execnz .LBB31_22
.LBB31_18:                              ;   in Loop: Header=BB31_9 Depth=1
	s_or_b64 exec, exec, s[8:9]
	s_and_saveexec_b64 s[2:3], s[4:5]
	s_cbranch_execnz .LBB31_23
.LBB31_19:                              ;   in Loop: Header=BB31_9 Depth=1
	s_or_b64 exec, exec, s[2:3]
	s_and_saveexec_b64 s[2:3], s[6:7]
	s_cbranch_execz .LBB31_8
	s_branch .LBB31_24
.LBB31_20:                              ;   in Loop: Header=BB31_9 Depth=1
	v_mov_b32_e32 v30, s11
	v_add_co_u32_e64 v32, s[8:9], s10, v8
	v_addc_co_u32_e64 v33, s[8:9], v7, v30, s[8:9]
	v_add_co_u32_e64 v34, s[8:9], s10, v6
	v_addc_co_u32_e64 v35, s[8:9], v5, v30, s[8:9]
	global_load_dword v30, v[34:35], off
	global_load_dword v31, v[32:33], off
	s_or_b64 exec, exec, s[20:21]
	s_and_saveexec_b64 s[8:9], vcc
	s_cbranch_execz .LBB31_17
.LBB31_21:                              ;   in Loop: Header=BB31_9 Depth=1
	s_waitcnt vmcnt(0)
	v_sub_f32_e32 v34, v26, v24
	v_mov_b32_e32 v33, s11
	v_add_co_u32_e32 v32, vcc, s10, v2
	v_fmac_f32_e32 v24, s12, v34
	v_fma_f32 v26, -v17, v34, v26
	v_addc_co_u32_e32 v33, vcc, v1, v33, vcc
	v_cndmask_b32_e64 v24, v26, v24, s[0:1]
	global_store_dword v[32:33], v24, off
	s_or_b64 exec, exec, s[8:9]
	s_and_saveexec_b64 s[8:9], s[2:3]
	s_cbranch_execz .LBB31_18
.LBB31_22:                              ;   in Loop: Header=BB31_9 Depth=1
	s_waitcnt vmcnt(0)
	v_sub_f32_e32 v24, v28, v27
	v_fmac_f32_e32 v27, s12, v24
	v_fma_f32 v24, -v17, v24, v28
	v_cndmask_b32_e64 v24, v24, v27, s[0:1]
	v_mov_b32_e32 v27, s11
	v_add_co_u32_e32 v26, vcc, s10, v14
	v_addc_co_u32_e32 v27, vcc, v13, v27, vcc
	global_store_dword v[26:27], v24, off
	s_or_b64 exec, exec, s[8:9]
	s_and_saveexec_b64 s[2:3], s[4:5]
	s_cbranch_execz .LBB31_19
.LBB31_23:                              ;   in Loop: Header=BB31_9 Depth=1
	s_waitcnt vmcnt(0)
	v_sub_f32_e32 v24, v29, v25
	v_fmac_f32_e32 v25, s12, v24
	v_fma_f32 v24, -v17, v24, v29
	v_cndmask_b32_e64 v26, v24, v25, s[0:1]
	v_mov_b32_e32 v25, s11
	v_add_co_u32_e32 v24, vcc, s10, v10
	v_addc_co_u32_e32 v25, vcc, v9, v25, vcc
	global_store_dword v[24:25], v26, off
	s_or_b64 exec, exec, s[2:3]
	s_and_saveexec_b64 s[2:3], s[6:7]
	s_cbranch_execz .LBB31_8
.LBB31_24:                              ;   in Loop: Header=BB31_9 Depth=1
	s_waitcnt vmcnt(0)
	v_sub_f32_e32 v24, v31, v30
	v_fmac_f32_e32 v30, s12, v24
	v_fma_f32 v24, -v17, v24, v31
	v_cndmask_b32_e64 v26, v24, v30, s[0:1]
	v_mov_b32_e32 v25, s11
	v_add_co_u32_e32 v24, vcc, s10, v6
	v_addc_co_u32_e32 v25, vcc, v5, v25, vcc
	global_store_dword v[24:25], v26, off
	s_branch .LBB31_8
.LBB31_25:
	s_endpgm
	.section	.rodata,"a",@progbits
	.p2align	6, 0x0
	.amdhsa_kernel _ZN2at6native12_GLOBAL__N_125multi_tensor_apply_kernelINS1_28TensorListScalarListMetadataIfLi2EEENS1_26TernaryOpScalarListFunctorIfLi2ELi2ELi0EEEJNS0_11LerpFunctorIfEEEEEvT_T0_DpT1_
		.amdhsa_group_segment_fixed_size 0
		.amdhsa_private_segment_fixed_size 0
		.amdhsa_kernarg_size 3656
		.amdhsa_user_sgpr_count 6
		.amdhsa_user_sgpr_private_segment_buffer 1
		.amdhsa_user_sgpr_dispatch_ptr 0
		.amdhsa_user_sgpr_queue_ptr 0
		.amdhsa_user_sgpr_kernarg_segment_ptr 1
		.amdhsa_user_sgpr_dispatch_id 0
		.amdhsa_user_sgpr_flat_scratch_init 0
		.amdhsa_user_sgpr_kernarg_preload_length 0
		.amdhsa_user_sgpr_kernarg_preload_offset 0
		.amdhsa_user_sgpr_private_segment_size 0
		.amdhsa_uses_dynamic_stack 0
		.amdhsa_system_sgpr_private_segment_wavefront_offset 0
		.amdhsa_system_sgpr_workgroup_id_x 1
		.amdhsa_system_sgpr_workgroup_id_y 0
		.amdhsa_system_sgpr_workgroup_id_z 0
		.amdhsa_system_sgpr_workgroup_info 0
		.amdhsa_system_vgpr_workitem_id 0
		.amdhsa_next_free_vgpr 36
		.amdhsa_next_free_sgpr 28
		.amdhsa_accum_offset 36
		.amdhsa_reserve_vcc 1
		.amdhsa_reserve_flat_scratch 0
		.amdhsa_float_round_mode_32 0
		.amdhsa_float_round_mode_16_64 0
		.amdhsa_float_denorm_mode_32 3
		.amdhsa_float_denorm_mode_16_64 3
		.amdhsa_dx10_clamp 1
		.amdhsa_ieee_mode 1
		.amdhsa_fp16_overflow 0
		.amdhsa_tg_split 0
		.amdhsa_exception_fp_ieee_invalid_op 0
		.amdhsa_exception_fp_denorm_src 0
		.amdhsa_exception_fp_ieee_div_zero 0
		.amdhsa_exception_fp_ieee_overflow 0
		.amdhsa_exception_fp_ieee_underflow 0
		.amdhsa_exception_fp_ieee_inexact 0
		.amdhsa_exception_int_div_zero 0
	.end_amdhsa_kernel
	.section	.text._ZN2at6native12_GLOBAL__N_125multi_tensor_apply_kernelINS1_28TensorListScalarListMetadataIfLi2EEENS1_26TernaryOpScalarListFunctorIfLi2ELi2ELi0EEEJNS0_11LerpFunctorIfEEEEEvT_T0_DpT1_,"axG",@progbits,_ZN2at6native12_GLOBAL__N_125multi_tensor_apply_kernelINS1_28TensorListScalarListMetadataIfLi2EEENS1_26TernaryOpScalarListFunctorIfLi2ELi2ELi0EEEJNS0_11LerpFunctorIfEEEEEvT_T0_DpT1_,comdat
.Lfunc_end31:
	.size	_ZN2at6native12_GLOBAL__N_125multi_tensor_apply_kernelINS1_28TensorListScalarListMetadataIfLi2EEENS1_26TernaryOpScalarListFunctorIfLi2ELi2ELi0EEEJNS0_11LerpFunctorIfEEEEEvT_T0_DpT1_, .Lfunc_end31-_ZN2at6native12_GLOBAL__N_125multi_tensor_apply_kernelINS1_28TensorListScalarListMetadataIfLi2EEENS1_26TernaryOpScalarListFunctorIfLi2ELi2ELi0EEEJNS0_11LerpFunctorIfEEEEEvT_T0_DpT1_
                                        ; -- End function
	.section	.AMDGPU.csdata,"",@progbits
; Kernel info:
; codeLenInByte = 1616
; NumSgprs: 32
; NumVgprs: 36
; NumAgprs: 0
; TotalNumVgprs: 36
; ScratchSize: 0
; MemoryBound: 0
; FloatMode: 240
; IeeeMode: 1
; LDSByteSize: 0 bytes/workgroup (compile time only)
; SGPRBlocks: 3
; VGPRBlocks: 4
; NumSGPRsForWavesPerEU: 32
; NumVGPRsForWavesPerEU: 36
; AccumOffset: 36
; Occupancy: 8
; WaveLimiterHint : 0
; COMPUTE_PGM_RSRC2:SCRATCH_EN: 0
; COMPUTE_PGM_RSRC2:USER_SGPR: 6
; COMPUTE_PGM_RSRC2:TRAP_HANDLER: 0
; COMPUTE_PGM_RSRC2:TGID_X_EN: 1
; COMPUTE_PGM_RSRC2:TGID_Y_EN: 0
; COMPUTE_PGM_RSRC2:TGID_Z_EN: 0
; COMPUTE_PGM_RSRC2:TIDIG_COMP_CNT: 0
; COMPUTE_PGM_RSRC3_GFX90A:ACCUM_OFFSET: 8
; COMPUTE_PGM_RSRC3_GFX90A:TG_SPLIT: 0
	.section	.text._ZN2at6native12_GLOBAL__N_125multi_tensor_apply_kernelINS1_28TensorListScalarListMetadataIN3c107complexIdEELi2EEENS1_26TernaryOpScalarListFunctorIS6_Li2ELi2ELi0EEEJNS0_11LerpFunctorIS6_EEEEEvT_T0_DpT1_,"axG",@progbits,_ZN2at6native12_GLOBAL__N_125multi_tensor_apply_kernelINS1_28TensorListScalarListMetadataIN3c107complexIdEELi2EEENS1_26TernaryOpScalarListFunctorIS6_Li2ELi2ELi0EEEJNS0_11LerpFunctorIS6_EEEEEvT_T0_DpT1_,comdat
	.globl	_ZN2at6native12_GLOBAL__N_125multi_tensor_apply_kernelINS1_28TensorListScalarListMetadataIN3c107complexIdEELi2EEENS1_26TernaryOpScalarListFunctorIS6_Li2ELi2ELi0EEEJNS0_11LerpFunctorIS6_EEEEEvT_T0_DpT1_ ; -- Begin function _ZN2at6native12_GLOBAL__N_125multi_tensor_apply_kernelINS1_28TensorListScalarListMetadataIN3c107complexIdEELi2EEENS1_26TernaryOpScalarListFunctorIS6_Li2ELi2ELi0EEEJNS0_11LerpFunctorIS6_EEEEEvT_T0_DpT1_
	.p2align	8
	.type	_ZN2at6native12_GLOBAL__N_125multi_tensor_apply_kernelINS1_28TensorListScalarListMetadataIN3c107complexIdEELi2EEENS1_26TernaryOpScalarListFunctorIS6_Li2ELi2ELi0EEEJNS0_11LerpFunctorIS6_EEEEEvT_T0_DpT1_,@function
_ZN2at6native12_GLOBAL__N_125multi_tensor_apply_kernelINS1_28TensorListScalarListMetadataIN3c107complexIdEELi2EEENS1_26TernaryOpScalarListFunctorIS6_Li2ELi2ELi0EEEJNS0_11LerpFunctorIS6_EEEEEvT_T0_DpT1_: ; @_ZN2at6native12_GLOBAL__N_125multi_tensor_apply_kernelINS1_28TensorListScalarListMetadataIN3c107complexIdEELi2EEENS1_26TernaryOpScalarListFunctorIS6_Li2ELi2ELi0EEEJNS0_11LerpFunctorIS6_EEEEEvT_T0_DpT1_
; %bb.0:
	v_mov_b32_e32 v1, s6
	global_load_ubyte v1, v1, s[4:5] offset:2400
	s_add_u32 s0, s4, s6
	s_mul_hi_u32 s1, s6, 3
	s_mul_i32 s6, s6, 3
	s_addc_u32 s2, s5, 0
	s_add_u32 s0, s0, s6
	s_addc_u32 s1, s2, s1
	s_load_dword s0, s[0:1], 0xaa0
	s_mov_b32 s11, 0
	s_waitcnt vmcnt(0)
	v_readfirstlane_b32 s1, v1
	s_lshl_b32 s14, s1, 3
	s_load_dwordx2 s[2:3], s[4:5], s14 offset:0x3c0
	s_load_dwordx2 s[6:7], s[4:5], s14 offset:0x0
	;; [unrolled: 1-line block ×3, first 2 shown]
	s_waitcnt lgkmcnt(0)
	s_ashr_i32 s1, s0, 31
	s_add_u32 s12, s4, s14
	s_addc_u32 s13, s5, 0
	s_lshl_b64 s[16:17], s[0:1], 20
	s_add_u32 s28, s6, s16
	s_addc_u32 s29, s7, s17
	s_add_u32 s30, s8, s16
	s_addc_u32 s31, s9, s17
	s_and_b32 s15, s28, 63
	s_and_b32 s18, s2, 3
	s_and_b32 s10, s30, 63
	s_or_b32 s15, s15, s18
	s_or_b32 s10, s10, s15
	s_load_dwordx4 s[12:15], s[12:13], s14 offset:0x5a0
	s_lshl_b64 s[0:1], s[0:1], 16
	s_sub_u32 s18, s2, s0
	s_subb_u32 s19, s3, s1
	s_cmp_eq_u64 s[10:11], 0
	s_mov_b64 s[0:1], -1
	s_cbranch_scc0 .LBB32_21
; %bb.1:
	v_mov_b32_e32 v35, 0
	v_lshlrev_b32_e32 v34, 2, v0
	v_cmp_gt_i64_e32 vcc, s[18:19], v[34:35]
	s_and_saveexec_b64 s[20:21], vcc
	s_cbranch_execz .LBB32_20
; %bb.2:
	s_load_dword s2, s[4:5], 0xfb4
	s_waitcnt lgkmcnt(0)
	v_mul_f64 v[2:3], s[14:15], s[14:15]
	s_mov_b32 s0, 0
	v_fmac_f64_e64 v[2:3], s[12:13], s[12:13]
	s_mov_b32 s1, 0x3fd00000
	s_and_b32 s2, s2, 0xffff
	v_cmp_ngt_f64_e64 s[0:1], s[0:1], v[2:3]
	v_add_f64 v[36:37], -s[12:13], 1.0
	s_mov_b64 s[22:23], 0
	v_add_f64 v[38:39], -s[14:15], 0
	v_add_lshl_u32 v34, v0, s2, 2
	s_lshl_b32 s10, s2, 2
	v_lshlrev_b32_e32 v40, 6, v0
	s_lshl_b32 s33, s2, 6
	s_mov_b64 s[24:25], 0xffff
	s_branch .LBB32_4
.LBB32_3:                               ;   in Loop: Header=BB32_4 Depth=1
	v_cmp_le_i64_e32 vcc, s[18:19], v[34:35]
	v_cmp_lt_u64_e64 s[2:3], s[24:25], v[34:35]
	s_or_b64 s[2:3], vcc, s[2:3]
	s_add_u32 s28, s28, s33
	s_addc_u32 s29, s29, 0
	s_add_u32 s30, s30, s33
	s_addc_u32 s31, s31, 0
	v_mov_b32_e32 v1, s11
	s_and_b64 s[2:3], exec, s[2:3]
	v_add_co_u32_e32 v34, vcc, s10, v34
	s_or_b64 s[22:23], s[2:3], s[22:23]
	v_addc_co_u32_e32 v35, vcc, v35, v1, vcc
	global_store_dwordx4 v[42:43], v[6:9], off
	global_store_dwordx4 v[42:43], v[18:21], off offset:16
	global_store_dwordx4 v[42:43], v[22:25], off offset:32
	;; [unrolled: 1-line block ×3, first 2 shown]
	s_andn2_b64 exec, exec, s[22:23]
	s_cbranch_execz .LBB32_20
.LBB32_4:                               ; =>This Inner Loop Header: Depth=1
	v_mov_b32_e32 v1, s29
	v_add_co_u32_e32 v42, vcc, s28, v40
	v_addc_co_u32_e32 v43, vcc, 0, v1, vcc
	global_load_dwordx4 v[26:29], v[42:43], off offset:16
	global_load_dwordx4 v[30:33], v[42:43], off
	v_mov_b32_e32 v1, s31
	v_add_co_u32_e32 v44, vcc, s30, v40
	v_addc_co_u32_e32 v45, vcc, 0, v1, vcc
	global_load_dwordx4 v[18:21], v[44:45], off offset:16
	global_load_dwordx4 v[6:9], v[44:45], off
	global_load_dwordx4 v[2:5], v[42:43], off offset:48
	global_load_dwordx4 v[14:17], v[42:43], off offset:32
	;; [unrolled: 1-line block ×4, first 2 shown]
	s_and_b64 vcc, exec, s[0:1]
	s_waitcnt vmcnt(4)
	v_add_f64 v[44:45], v[6:7], -v[30:31]
	v_add_f64 v[46:47], v[8:9], -v[32:33]
	s_cbranch_vccz .LBB32_6
; %bb.5:                                ;   in Loop: Header=BB32_4 Depth=1
	v_mul_f64 v[48:49], v[38:39], v[46:47]
	v_mul_f64 v[50:51], v[36:37], v[46:47]
	v_fma_f64 v[48:49], v[36:37], v[44:45], -v[48:49]
	v_fmac_f64_e32 v[50:51], v[38:39], v[44:45]
	v_add_f64 v[6:7], v[6:7], -v[48:49]
	v_add_f64 v[8:9], v[8:9], -v[50:51]
	s_cbranch_execz .LBB32_7
	s_branch .LBB32_8
.LBB32_6:                               ;   in Loop: Header=BB32_4 Depth=1
                                        ; implicit-def: $vgpr8_vgpr9
.LBB32_7:                               ;   in Loop: Header=BB32_4 Depth=1
	v_mul_f64 v[6:7], s[14:15], v[46:47]
	v_mul_f64 v[8:9], s[12:13], v[46:47]
	v_fma_f64 v[6:7], s[12:13], v[44:45], -v[6:7]
	v_fmac_f64_e32 v[8:9], s[14:15], v[44:45]
	v_add_f64 v[6:7], v[30:31], v[6:7]
	v_add_f64 v[8:9], v[32:33], v[8:9]
.LBB32_8:                               ;   in Loop: Header=BB32_4 Depth=1
	v_cndmask_b32_e64 v1, 0, 1, s[0:1]
	v_add_f64 v[30:31], v[18:19], -v[26:27]
	v_cmp_ne_u32_e64 s[2:3], 1, v1
	s_andn2_b64 vcc, exec, s[0:1]
	v_add_f64 v[32:33], v[20:21], -v[28:29]
	s_cbranch_vccnz .LBB32_10
; %bb.9:                                ;   in Loop: Header=BB32_4 Depth=1
	v_mul_f64 v[44:45], v[38:39], v[32:33]
	v_mul_f64 v[46:47], v[36:37], v[32:33]
	v_fma_f64 v[44:45], v[36:37], v[30:31], -v[44:45]
	v_fmac_f64_e32 v[46:47], v[38:39], v[30:31]
	v_add_f64 v[18:19], v[18:19], -v[44:45]
	v_add_f64 v[20:21], v[20:21], -v[46:47]
	s_cbranch_execz .LBB32_11
	s_branch .LBB32_12
.LBB32_10:                              ;   in Loop: Header=BB32_4 Depth=1
                                        ; implicit-def: $vgpr20_vgpr21
.LBB32_11:                              ;   in Loop: Header=BB32_4 Depth=1
	v_mul_f64 v[18:19], s[14:15], v[32:33]
	v_mul_f64 v[20:21], s[12:13], v[32:33]
	v_fma_f64 v[18:19], s[12:13], v[30:31], -v[18:19]
	v_fmac_f64_e32 v[20:21], s[14:15], v[30:31]
	v_add_f64 v[18:19], v[26:27], v[18:19]
	v_add_f64 v[20:21], v[28:29], v[20:21]
.LBB32_12:                              ;   in Loop: Header=BB32_4 Depth=1
	s_waitcnt vmcnt(0)
	v_add_f64 v[26:27], v[22:23], -v[14:15]
	s_and_b64 vcc, exec, s[2:3]
	v_add_f64 v[28:29], v[24:25], -v[16:17]
	s_cbranch_vccnz .LBB32_14
; %bb.13:                               ;   in Loop: Header=BB32_4 Depth=1
	v_mul_f64 v[30:31], v[38:39], v[28:29]
	v_mul_f64 v[32:33], v[36:37], v[28:29]
	v_fma_f64 v[30:31], v[36:37], v[26:27], -v[30:31]
	v_fmac_f64_e32 v[32:33], v[38:39], v[26:27]
	v_add_f64 v[22:23], v[22:23], -v[30:31]
	v_add_f64 v[24:25], v[24:25], -v[32:33]
	s_cbranch_execz .LBB32_15
	s_branch .LBB32_16
.LBB32_14:                              ;   in Loop: Header=BB32_4 Depth=1
                                        ; implicit-def: $vgpr24_vgpr25
.LBB32_15:                              ;   in Loop: Header=BB32_4 Depth=1
	v_mul_f64 v[22:23], s[14:15], v[28:29]
	v_mul_f64 v[24:25], s[12:13], v[28:29]
	v_fma_f64 v[22:23], s[12:13], v[26:27], -v[22:23]
	v_fmac_f64_e32 v[24:25], s[14:15], v[26:27]
	v_add_f64 v[22:23], v[14:15], v[22:23]
	v_add_f64 v[24:25], v[16:17], v[24:25]
.LBB32_16:                              ;   in Loop: Header=BB32_4 Depth=1
	v_add_f64 v[14:15], v[10:11], -v[2:3]
	s_and_b64 vcc, exec, s[2:3]
	v_add_f64 v[16:17], v[12:13], -v[4:5]
	s_cbranch_vccnz .LBB32_18
; %bb.17:                               ;   in Loop: Header=BB32_4 Depth=1
	v_mul_f64 v[26:27], v[38:39], v[16:17]
	v_mul_f64 v[28:29], v[36:37], v[16:17]
	v_fma_f64 v[26:27], v[36:37], v[14:15], -v[26:27]
	v_fmac_f64_e32 v[28:29], v[38:39], v[14:15]
	v_add_f64 v[10:11], v[10:11], -v[26:27]
	v_add_f64 v[12:13], v[12:13], -v[28:29]
	s_cbranch_execnz .LBB32_3
	s_branch .LBB32_19
.LBB32_18:                              ;   in Loop: Header=BB32_4 Depth=1
                                        ; implicit-def: $vgpr12_vgpr13
.LBB32_19:                              ;   in Loop: Header=BB32_4 Depth=1
	v_mul_f64 v[10:11], s[14:15], v[16:17]
	v_mul_f64 v[12:13], s[12:13], v[16:17]
	v_fma_f64 v[10:11], s[12:13], v[14:15], -v[10:11]
	v_fmac_f64_e32 v[12:13], s[14:15], v[14:15]
	v_add_f64 v[10:11], v[2:3], v[10:11]
	v_add_f64 v[12:13], v[4:5], v[12:13]
	s_branch .LBB32_3
.LBB32_20:
	s_or_b64 exec, exec, s[20:21]
	s_mov_b64 s[0:1], 0
.LBB32_21:
	s_andn2_b64 vcc, exec, s[0:1]
	s_cbranch_vccnz .LBB32_57
; %bb.22:
	v_cmp_lt_i64_e64 s[0:1], s[18:19], 1
	s_and_b64 vcc, exec, s[0:1]
	s_cbranch_vccnz .LBB32_57
; %bb.23:
	s_load_dword s0, s[4:5], 0xfb4
	v_mov_b32_e32 v2, 0x10000
	v_mov_b32_e32 v3, 0
	v_cmp_lt_u64_e32 vcc, s[18:19], v[2:3]
	s_waitcnt lgkmcnt(0)
	v_mul_f64 v[2:3], s[14:15], s[14:15]
	s_and_b32 s29, s0, 0xffff
	s_and_b64 s[0:1], vcc, exec
	s_mov_b32 s0, 0
	v_fmac_f64_e64 v[2:3], s[12:13], s[12:13]
	s_mov_b32 s1, 0x3fd00000
	v_cmp_ngt_f64_e64 s[0:1], s[0:1], v[2:3]
	v_lshl_or_b32 v2, v0, 4, 8
	v_mov_b32_e32 v6, s9
	v_add_co_u32_e32 v38, vcc, s8, v2
	v_addc_co_u32_e32 v39, vcc, 0, v6, vcc
	v_mov_b32_e32 v7, s7
	v_add_co_u32_e32 v40, vcc, s6, v2
	v_mov_b32_e32 v1, 0
	v_addc_co_u32_e32 v41, vcc, 0, v7, vcc
	v_add_lshl_u32 v8, v0, s29, 4
	v_mov_b32_e32 v3, v1
	v_add_co_u32_e32 v42, vcc, s6, v8
	v_addc_co_u32_e32 v43, vcc, 0, v7, vcc
	v_mad_u64_u32 v[4:5], s[2:3], s29, 48, v[2:3]
	v_add_co_u32_e32 v44, vcc, s8, v4
	v_addc_co_u32_e32 v45, vcc, v6, v5, vcc
	v_add_co_u32_e32 v46, vcc, s8, v8
	v_addc_co_u32_e32 v47, vcc, 0, v6, vcc
	v_add_co_u32_e32 v48, vcc, s6, v4
	s_cselect_b32 s21, s19, 0
	s_cselect_b32 s20, s18, 0x10000
	v_addc_co_u32_e32 v49, vcc, v7, v5, vcc
	s_lshl_b32 s2, s29, 5
	v_add_co_u32_e32 v2, vcc, s2, v2
	v_addc_co_u32_e64 v3, s[2:3], 0, 0, vcc
	v_add_co_u32_e32 v50, vcc, s8, v2
	s_mov_b32 s28, 0
	v_addc_co_u32_e32 v51, vcc, v6, v3, vcc
	s_lshl_b32 s22, s29, 2
	s_mov_b32 s23, s28
	v_add_co_u32_e32 v52, vcc, s6, v2
	s_lshl_b32 s30, s29, 1
	s_mov_b32 s31, s28
	s_mul_i32 s33, s29, 3
	s_mov_b32 s34, s28
	v_add_f64 v[34:35], -s[12:13], 1.0
	v_add_f64 v[36:37], -s[14:15], 0
	s_lshl_b32 s35, s29, 6
	s_mov_b32 s36, s28
	v_addc_co_u32_e32 v53, vcc, v7, v3, vcc
	s_mov_b64 s[24:25], s[22:23]
	s_branch .LBB32_25
.LBB32_24:                              ;   in Loop: Header=BB32_25 Depth=1
	s_or_b64 exec, exec, s[2:3]
	v_pk_mov_b32 v[2:3], s[18:19], s[18:19] op_sel:[0,1]
	v_cmp_ge_i64_e32 vcc, s[24:25], v[2:3]
	v_mov_b32_e32 v2, 0xffff
	v_mov_b32_e32 v3, 0
	v_cmp_gt_u64_e64 s[2:3], s[24:25], v[2:3]
	s_or_b64 s[2:3], vcc, s[2:3]
	v_mov_b32_e32 v2, s23
	v_add_co_u32_e32 v0, vcc, s22, v0
	v_addc_co_u32_e32 v1, vcc, v1, v2, vcc
	v_mov_b32_e32 v2, s36
	v_add_co_u32_e32 v38, vcc, s35, v38
	v_addc_co_u32_e32 v39, vcc, v39, v2, vcc
	v_add_co_u32_e32 v40, vcc, s35, v40
	v_addc_co_u32_e32 v41, vcc, v41, v2, vcc
	;; [unrolled: 2-line block ×7, first 2 shown]
	v_add_co_u32_e32 v52, vcc, s35, v52
	s_add_u32 s24, s24, s22
	v_addc_co_u32_e32 v53, vcc, v53, v2, vcc
	s_addc_u32 s25, s25, 0
	s_and_b64 vcc, exec, s[2:3]
	s_cbranch_vccnz .LBB32_57
.LBB32_25:                              ; =>This Inner Loop Header: Depth=1
	v_pk_mov_b32 v[4:5], 0, 0
	v_cmp_gt_u64_e64 s[2:3], s[20:21], v[0:1]
	v_pk_mov_b32 v[24:25], v[4:5], v[4:5] op_sel:[0,1]
	v_pk_mov_b32 v[22:23], v[4:5], v[4:5] op_sel:[0,1]
	;; [unrolled: 1-line block ×4, first 2 shown]
	s_and_saveexec_b64 s[4:5], s[2:3]
	s_cbranch_execz .LBB32_27
; %bb.26:                               ;   in Loop: Header=BB32_25 Depth=1
	v_mov_b32_e32 v6, s17
	v_add_co_u32_e32 v2, vcc, s16, v38
	v_addc_co_u32_e32 v3, vcc, v39, v6, vcc
	v_add_co_u32_e32 v10, vcc, s16, v40
	v_addc_co_u32_e32 v11, vcc, v41, v6, vcc
	global_load_dwordx4 v[6:9], v[10:11], off offset:-8
	global_load_dwordx4 v[22:25], v[2:3], off offset:-8
.LBB32_27:                              ;   in Loop: Header=BB32_25 Depth=1
	s_or_b64 exec, exec, s[4:5]
	v_mov_b32_e32 v3, s28
	v_add_co_u32_e32 v2, vcc, s29, v0
	v_addc_co_u32_e32 v3, vcc, v3, v1, vcc
	v_cmp_gt_u64_e64 s[4:5], s[20:21], v[2:3]
	v_pk_mov_b32 v[2:3], v[4:5], v[4:5] op_sel:[0,1]
	v_pk_mov_b32 v[12:13], v[4:5], v[4:5] op_sel:[0,1]
	;; [unrolled: 1-line block ×3, first 2 shown]
	s_and_saveexec_b64 s[6:7], s[4:5]
	s_cbranch_execz .LBB32_29
; %bb.28:                               ;   in Loop: Header=BB32_25 Depth=1
	v_mov_b32_e32 v2, s17
	v_add_co_u32_e32 v14, vcc, s16, v46
	v_addc_co_u32_e32 v15, vcc, v47, v2, vcc
	v_add_co_u32_e32 v16, vcc, s16, v42
	v_addc_co_u32_e32 v17, vcc, v43, v2, vcc
	global_load_dwordx4 v[10:13], v[16:17], off
	global_load_dwordx4 v[2:5], v[14:15], off
.LBB32_29:                              ;   in Loop: Header=BB32_25 Depth=1
	s_or_b64 exec, exec, s[6:7]
	v_mov_b32_e32 v15, s31
	v_add_co_u32_e32 v14, vcc, s30, v0
	v_addc_co_u32_e32 v15, vcc, v15, v1, vcc
	v_pk_mov_b32 v[16:17], 0, 0
	v_cmp_gt_u64_e64 s[6:7], s[20:21], v[14:15]
	v_pk_mov_b32 v[32:33], v[16:17], v[16:17] op_sel:[0,1]
	v_pk_mov_b32 v[30:31], v[16:17], v[16:17] op_sel:[0,1]
	;; [unrolled: 1-line block ×4, first 2 shown]
	s_and_saveexec_b64 s[8:9], s[6:7]
	s_cbranch_execz .LBB32_31
; %bb.30:                               ;   in Loop: Header=BB32_25 Depth=1
	v_mov_b32_e32 v18, s17
	v_add_co_u32_e32 v14, vcc, s16, v50
	v_addc_co_u32_e32 v15, vcc, v51, v18, vcc
	v_add_co_u32_e32 v26, vcc, s16, v52
	v_addc_co_u32_e32 v27, vcc, v53, v18, vcc
	global_load_dwordx4 v[18:21], v[26:27], off offset:-8
	global_load_dwordx4 v[30:33], v[14:15], off offset:-8
.LBB32_31:                              ;   in Loop: Header=BB32_25 Depth=1
	s_or_b64 exec, exec, s[8:9]
	v_mov_b32_e32 v15, s34
	v_add_co_u32_e32 v14, vcc, s33, v0
	v_addc_co_u32_e32 v15, vcc, v15, v1, vcc
	v_cmp_gt_u64_e64 s[8:9], s[20:21], v[14:15]
	v_pk_mov_b32 v[14:15], v[16:17], v[16:17] op_sel:[0,1]
	v_pk_mov_b32 v[28:29], v[16:17], v[16:17] op_sel:[0,1]
	;; [unrolled: 1-line block ×3, first 2 shown]
	s_and_saveexec_b64 s[10:11], s[8:9]
	s_cbranch_execz .LBB32_33
; %bb.32:                               ;   in Loop: Header=BB32_25 Depth=1
	v_mov_b32_e32 v14, s17
	v_add_co_u32_e32 v54, vcc, s16, v44
	v_addc_co_u32_e32 v55, vcc, v45, v14, vcc
	v_add_co_u32_e32 v56, vcc, s16, v48
	v_addc_co_u32_e32 v57, vcc, v49, v14, vcc
	global_load_dwordx4 v[26:29], v[56:57], off offset:-8
	global_load_dwordx4 v[14:17], v[54:55], off offset:-8
.LBB32_33:                              ;   in Loop: Header=BB32_25 Depth=1
	s_or_b64 exec, exec, s[10:11]
	s_waitcnt vmcnt(0)
	v_add_f64 v[56:57], v[22:23], -v[6:7]
	v_add_f64 v[54:55], v[24:25], -v[8:9]
	s_and_b64 vcc, exec, s[0:1]
	s_cbranch_vccz .LBB32_49
; %bb.34:                               ;   in Loop: Header=BB32_25 Depth=1
	v_mul_f64 v[58:59], v[36:37], v[54:55]
	v_mul_f64 v[60:61], v[36:37], v[56:57]
	v_fma_f64 v[58:59], v[34:35], v[56:57], -v[58:59]
	v_fmac_f64_e32 v[60:61], v[34:35], v[54:55]
	v_add_f64 v[22:23], v[22:23], -v[58:59]
	v_add_f64 v[24:25], v[24:25], -v[60:61]
	s_cbranch_execnz .LBB32_36
.LBB32_35:                              ;   in Loop: Header=BB32_25 Depth=1
	v_mul_f64 v[22:23], s[14:15], v[54:55]
	v_mul_f64 v[24:25], s[14:15], v[56:57]
	v_fma_f64 v[22:23], s[12:13], v[56:57], -v[22:23]
	v_fmac_f64_e32 v[24:25], s[12:13], v[54:55]
	v_add_f64 v[22:23], v[6:7], v[22:23]
	v_add_f64 v[24:25], v[8:9], v[24:25]
.LBB32_36:                              ;   in Loop: Header=BB32_25 Depth=1
	v_cndmask_b32_e64 v8, 0, 1, s[0:1]
	v_add_f64 v[6:7], v[2:3], -v[10:11]
	v_cmp_ne_u32_e64 s[10:11], 1, v8
	s_andn2_b64 vcc, exec, s[0:1]
	v_add_f64 v[8:9], v[4:5], -v[12:13]
	s_cbranch_vccnz .LBB32_50
; %bb.37:                               ;   in Loop: Header=BB32_25 Depth=1
	v_mul_f64 v[54:55], v[36:37], v[8:9]
	v_mul_f64 v[56:57], v[36:37], v[6:7]
	v_fma_f64 v[54:55], v[34:35], v[6:7], -v[54:55]
	v_fmac_f64_e32 v[56:57], v[34:35], v[8:9]
	v_add_f64 v[2:3], v[2:3], -v[54:55]
	v_add_f64 v[4:5], v[4:5], -v[56:57]
	s_cbranch_execnz .LBB32_39
.LBB32_38:                              ;   in Loop: Header=BB32_25 Depth=1
	v_mul_f64 v[2:3], s[14:15], v[8:9]
	v_mul_f64 v[4:5], s[14:15], v[6:7]
	v_fma_f64 v[2:3], s[12:13], v[6:7], -v[2:3]
	v_fmac_f64_e32 v[4:5], s[12:13], v[8:9]
	v_add_f64 v[2:3], v[10:11], v[2:3]
	v_add_f64 v[4:5], v[12:13], v[4:5]
.LBB32_39:                              ;   in Loop: Header=BB32_25 Depth=1
	v_add_f64 v[10:11], v[30:31], -v[18:19]
	s_and_b64 vcc, exec, s[10:11]
	v_add_f64 v[12:13], v[32:33], -v[20:21]
	s_cbranch_vccnz .LBB32_51
; %bb.40:                               ;   in Loop: Header=BB32_25 Depth=1
	v_mul_f64 v[6:7], v[36:37], v[12:13]
	v_mul_f64 v[8:9], v[36:37], v[10:11]
	v_fma_f64 v[6:7], v[34:35], v[10:11], -v[6:7]
	v_fmac_f64_e32 v[8:9], v[34:35], v[12:13]
	v_add_f64 v[6:7], v[30:31], -v[6:7]
	v_add_f64 v[8:9], v[32:33], -v[8:9]
	s_cbranch_execnz .LBB32_42
.LBB32_41:                              ;   in Loop: Header=BB32_25 Depth=1
	v_mul_f64 v[6:7], s[14:15], v[12:13]
	v_mul_f64 v[8:9], s[14:15], v[10:11]
	v_fma_f64 v[6:7], s[12:13], v[10:11], -v[6:7]
	v_fmac_f64_e32 v[8:9], s[12:13], v[12:13]
	v_add_f64 v[6:7], v[18:19], v[6:7]
	v_add_f64 v[8:9], v[20:21], v[8:9]
.LBB32_42:                              ;   in Loop: Header=BB32_25 Depth=1
	v_add_f64 v[18:19], v[14:15], -v[26:27]
	s_and_b64 vcc, exec, s[10:11]
	v_add_f64 v[20:21], v[16:17], -v[28:29]
	s_cbranch_vccnz .LBB32_52
; %bb.43:                               ;   in Loop: Header=BB32_25 Depth=1
	v_mul_f64 v[10:11], v[36:37], v[20:21]
	v_mul_f64 v[12:13], v[36:37], v[18:19]
	v_fma_f64 v[10:11], v[34:35], v[18:19], -v[10:11]
	v_fmac_f64_e32 v[12:13], v[34:35], v[20:21]
	v_add_f64 v[10:11], v[14:15], -v[10:11]
	v_add_f64 v[12:13], v[16:17], -v[12:13]
	s_cbranch_execnz .LBB32_45
.LBB32_44:                              ;   in Loop: Header=BB32_25 Depth=1
	v_mul_f64 v[10:11], s[14:15], v[20:21]
	v_mul_f64 v[12:13], s[14:15], v[18:19]
	v_fma_f64 v[10:11], s[12:13], v[18:19], -v[10:11]
	v_fmac_f64_e32 v[12:13], s[12:13], v[20:21]
	v_add_f64 v[10:11], v[26:27], v[10:11]
	v_add_f64 v[12:13], v[28:29], v[12:13]
.LBB32_45:                              ;   in Loop: Header=BB32_25 Depth=1
	s_and_saveexec_b64 s[10:11], s[2:3]
	s_xor_b64 s[2:3], exec, s[10:11]
	s_cbranch_execnz .LBB32_53
; %bb.46:                               ;   in Loop: Header=BB32_25 Depth=1
	s_or_b64 exec, exec, s[2:3]
	s_and_saveexec_b64 s[2:3], s[4:5]
	s_cbranch_execnz .LBB32_54
.LBB32_47:                              ;   in Loop: Header=BB32_25 Depth=1
	s_or_b64 exec, exec, s[2:3]
	s_and_saveexec_b64 s[2:3], s[6:7]
	s_cbranch_execnz .LBB32_55
.LBB32_48:                              ;   in Loop: Header=BB32_25 Depth=1
	s_or_b64 exec, exec, s[2:3]
	s_and_saveexec_b64 s[2:3], s[8:9]
	s_cbranch_execz .LBB32_24
	s_branch .LBB32_56
.LBB32_49:                              ;   in Loop: Header=BB32_25 Depth=1
                                        ; implicit-def: $vgpr24_vgpr25
	s_branch .LBB32_35
.LBB32_50:                              ;   in Loop: Header=BB32_25 Depth=1
                                        ; implicit-def: $vgpr4_vgpr5
	s_branch .LBB32_38
.LBB32_51:                              ;   in Loop: Header=BB32_25 Depth=1
                                        ; implicit-def: $vgpr8_vgpr9
	s_branch .LBB32_41
.LBB32_52:                              ;   in Loop: Header=BB32_25 Depth=1
                                        ; implicit-def: $vgpr12_vgpr13
	s_branch .LBB32_44
.LBB32_53:                              ;   in Loop: Header=BB32_25 Depth=1
	v_mov_b32_e32 v15, s17
	v_add_co_u32_e32 v14, vcc, s16, v40
	v_addc_co_u32_e32 v15, vcc, v41, v15, vcc
	global_store_dwordx4 v[14:15], v[22:25], off offset:-8
	s_or_b64 exec, exec, s[2:3]
	s_and_saveexec_b64 s[2:3], s[4:5]
	s_cbranch_execz .LBB32_47
.LBB32_54:                              ;   in Loop: Header=BB32_25 Depth=1
	v_mov_b32_e32 v15, s17
	v_add_co_u32_e32 v14, vcc, s16, v42
	v_addc_co_u32_e32 v15, vcc, v43, v15, vcc
	global_store_dwordx4 v[14:15], v[2:5], off
	s_or_b64 exec, exec, s[2:3]
	s_and_saveexec_b64 s[2:3], s[6:7]
	s_cbranch_execz .LBB32_48
.LBB32_55:                              ;   in Loop: Header=BB32_25 Depth=1
	v_mov_b32_e32 v3, s17
	v_add_co_u32_e32 v2, vcc, s16, v52
	v_addc_co_u32_e32 v3, vcc, v53, v3, vcc
	global_store_dwordx4 v[2:3], v[6:9], off offset:-8
	s_or_b64 exec, exec, s[2:3]
	s_and_saveexec_b64 s[2:3], s[8:9]
	s_cbranch_execz .LBB32_24
.LBB32_56:                              ;   in Loop: Header=BB32_25 Depth=1
	v_mov_b32_e32 v3, s17
	v_add_co_u32_e32 v2, vcc, s16, v48
	v_addc_co_u32_e32 v3, vcc, v49, v3, vcc
	global_store_dwordx4 v[2:3], v[10:13], off offset:-8
	s_branch .LBB32_24
.LBB32_57:
	s_endpgm
	.section	.rodata,"a",@progbits
	.p2align	6, 0x0
	.amdhsa_kernel _ZN2at6native12_GLOBAL__N_125multi_tensor_apply_kernelINS1_28TensorListScalarListMetadataIN3c107complexIdEELi2EEENS1_26TernaryOpScalarListFunctorIS6_Li2ELi2ELi0EEEJNS0_11LerpFunctorIS6_EEEEEvT_T0_DpT1_
		.amdhsa_group_segment_fixed_size 0
		.amdhsa_private_segment_fixed_size 0
		.amdhsa_kernarg_size 4264
		.amdhsa_user_sgpr_count 6
		.amdhsa_user_sgpr_private_segment_buffer 1
		.amdhsa_user_sgpr_dispatch_ptr 0
		.amdhsa_user_sgpr_queue_ptr 0
		.amdhsa_user_sgpr_kernarg_segment_ptr 1
		.amdhsa_user_sgpr_dispatch_id 0
		.amdhsa_user_sgpr_flat_scratch_init 0
		.amdhsa_user_sgpr_kernarg_preload_length 0
		.amdhsa_user_sgpr_kernarg_preload_offset 0
		.amdhsa_user_sgpr_private_segment_size 0
		.amdhsa_uses_dynamic_stack 0
		.amdhsa_system_sgpr_private_segment_wavefront_offset 0
		.amdhsa_system_sgpr_workgroup_id_x 1
		.amdhsa_system_sgpr_workgroup_id_y 0
		.amdhsa_system_sgpr_workgroup_id_z 0
		.amdhsa_system_sgpr_workgroup_info 0
		.amdhsa_system_vgpr_workitem_id 0
		.amdhsa_next_free_vgpr 62
		.amdhsa_next_free_sgpr 37
		.amdhsa_accum_offset 64
		.amdhsa_reserve_vcc 1
		.amdhsa_reserve_flat_scratch 0
		.amdhsa_float_round_mode_32 0
		.amdhsa_float_round_mode_16_64 0
		.amdhsa_float_denorm_mode_32 3
		.amdhsa_float_denorm_mode_16_64 3
		.amdhsa_dx10_clamp 1
		.amdhsa_ieee_mode 1
		.amdhsa_fp16_overflow 0
		.amdhsa_tg_split 0
		.amdhsa_exception_fp_ieee_invalid_op 0
		.amdhsa_exception_fp_denorm_src 0
		.amdhsa_exception_fp_ieee_div_zero 0
		.amdhsa_exception_fp_ieee_overflow 0
		.amdhsa_exception_fp_ieee_underflow 0
		.amdhsa_exception_fp_ieee_inexact 0
		.amdhsa_exception_int_div_zero 0
	.end_amdhsa_kernel
	.section	.text._ZN2at6native12_GLOBAL__N_125multi_tensor_apply_kernelINS1_28TensorListScalarListMetadataIN3c107complexIdEELi2EEENS1_26TernaryOpScalarListFunctorIS6_Li2ELi2ELi0EEEJNS0_11LerpFunctorIS6_EEEEEvT_T0_DpT1_,"axG",@progbits,_ZN2at6native12_GLOBAL__N_125multi_tensor_apply_kernelINS1_28TensorListScalarListMetadataIN3c107complexIdEELi2EEENS1_26TernaryOpScalarListFunctorIS6_Li2ELi2ELi0EEEJNS0_11LerpFunctorIS6_EEEEEvT_T0_DpT1_,comdat
.Lfunc_end32:
	.size	_ZN2at6native12_GLOBAL__N_125multi_tensor_apply_kernelINS1_28TensorListScalarListMetadataIN3c107complexIdEELi2EEENS1_26TernaryOpScalarListFunctorIS6_Li2ELi2ELi0EEEJNS0_11LerpFunctorIS6_EEEEEvT_T0_DpT1_, .Lfunc_end32-_ZN2at6native12_GLOBAL__N_125multi_tensor_apply_kernelINS1_28TensorListScalarListMetadataIN3c107complexIdEELi2EEENS1_26TernaryOpScalarListFunctorIS6_Li2ELi2ELi0EEEJNS0_11LerpFunctorIS6_EEEEEvT_T0_DpT1_
                                        ; -- End function
	.section	.AMDGPU.csdata,"",@progbits
; Kernel info:
; codeLenInByte = 2488
; NumSgprs: 41
; NumVgprs: 62
; NumAgprs: 0
; TotalNumVgprs: 62
; ScratchSize: 0
; MemoryBound: 1
; FloatMode: 240
; IeeeMode: 1
; LDSByteSize: 0 bytes/workgroup (compile time only)
; SGPRBlocks: 5
; VGPRBlocks: 7
; NumSGPRsForWavesPerEU: 41
; NumVGPRsForWavesPerEU: 62
; AccumOffset: 64
; Occupancy: 8
; WaveLimiterHint : 0
; COMPUTE_PGM_RSRC2:SCRATCH_EN: 0
; COMPUTE_PGM_RSRC2:USER_SGPR: 6
; COMPUTE_PGM_RSRC2:TRAP_HANDLER: 0
; COMPUTE_PGM_RSRC2:TGID_X_EN: 1
; COMPUTE_PGM_RSRC2:TGID_Y_EN: 0
; COMPUTE_PGM_RSRC2:TGID_Z_EN: 0
; COMPUTE_PGM_RSRC2:TIDIG_COMP_CNT: 0
; COMPUTE_PGM_RSRC3_GFX90A:ACCUM_OFFSET: 15
; COMPUTE_PGM_RSRC3_GFX90A:TG_SPLIT: 0
	.section	.text._ZN2at6native12_GLOBAL__N_125multi_tensor_apply_kernelINS1_28TensorListScalarListMetadataIN3c107complexIfEELi2EEENS1_26TernaryOpScalarListFunctorIS6_Li2ELi2ELi0EEEJNS0_11LerpFunctorIS6_EEEEEvT_T0_DpT1_,"axG",@progbits,_ZN2at6native12_GLOBAL__N_125multi_tensor_apply_kernelINS1_28TensorListScalarListMetadataIN3c107complexIfEELi2EEENS1_26TernaryOpScalarListFunctorIS6_Li2ELi2ELi0EEEJNS0_11LerpFunctorIS6_EEEEEvT_T0_DpT1_,comdat
	.globl	_ZN2at6native12_GLOBAL__N_125multi_tensor_apply_kernelINS1_28TensorListScalarListMetadataIN3c107complexIfEELi2EEENS1_26TernaryOpScalarListFunctorIS6_Li2ELi2ELi0EEEJNS0_11LerpFunctorIS6_EEEEEvT_T0_DpT1_ ; -- Begin function _ZN2at6native12_GLOBAL__N_125multi_tensor_apply_kernelINS1_28TensorListScalarListMetadataIN3c107complexIfEELi2EEENS1_26TernaryOpScalarListFunctorIS6_Li2ELi2ELi0EEEJNS0_11LerpFunctorIS6_EEEEEvT_T0_DpT1_
	.p2align	8
	.type	_ZN2at6native12_GLOBAL__N_125multi_tensor_apply_kernelINS1_28TensorListScalarListMetadataIN3c107complexIfEELi2EEENS1_26TernaryOpScalarListFunctorIS6_Li2ELi2ELi0EEEJNS0_11LerpFunctorIS6_EEEEEvT_T0_DpT1_,@function
_ZN2at6native12_GLOBAL__N_125multi_tensor_apply_kernelINS1_28TensorListScalarListMetadataIN3c107complexIfEELi2EEENS1_26TernaryOpScalarListFunctorIS6_Li2ELi2ELi0EEEJNS0_11LerpFunctorIS6_EEEEEvT_T0_DpT1_: ; @_ZN2at6native12_GLOBAL__N_125multi_tensor_apply_kernelINS1_28TensorListScalarListMetadataIN3c107complexIfEELi2EEENS1_26TernaryOpScalarListFunctorIS6_Li2ELi2ELi0EEEJNS0_11LerpFunctorIS6_EEEEEvT_T0_DpT1_
; %bb.0:
	v_mov_b32_e32 v1, s6
	global_load_ubyte v1, v1, s[4:5] offset:2048
	s_add_u32 s0, s4, s6
	s_mul_hi_u32 s2, s6, 3
	s_mul_i32 s6, s6, 3
	s_addc_u32 s7, s5, 0
	s_add_u32 s6, s0, s6
	s_addc_u32 s7, s7, s2
	s_load_dword s6, s[6:7], 0x940
	s_mov_b32 s1, 0
	s_mov_b32 s3, s1
	;; [unrolled: 1-line block ×3, first 2 shown]
	s_waitcnt lgkmcnt(0)
	s_ashr_i32 s7, s6, 31
	s_lshl_b64 s[14:15], s[6:7], 19
	s_waitcnt vmcnt(0)
	v_readfirstlane_b32 s0, v1
	s_lshl_b32 s0, s0, 3
	s_load_dwordx2 s[8:9], s[4:5], s0 offset:0x0
	s_load_dwordx2 s[12:13], s[4:5], s0 offset:0x600
	;; [unrolled: 1-line block ×4, first 2 shown]
	s_waitcnt lgkmcnt(0)
	s_add_u32 s24, s8, s14
	s_addc_u32 s25, s9, s15
	s_add_u32 s26, s10, s14
	s_addc_u32 s27, s11, s15
	s_and_b32 s2, s24, 31
	s_and_b32 s18, s16, 3
	;; [unrolled: 1-line block ×3, first 2 shown]
	s_or_b64 s[2:3], s[2:3], s[18:19]
	s_lshl_b64 s[6:7], s[6:7], 16
	s_or_b64 s[0:1], s[0:1], s[2:3]
	s_sub_u32 s16, s16, s6
	s_subb_u32 s17, s17, s7
	s_cmp_eq_u64 s[0:1], 0
	s_mov_b64 s[0:1], -1
	s_cbranch_scc0 .LBB33_21
; %bb.1:
	v_mov_b32_e32 v19, 0
	v_lshlrev_b32_e32 v18, 2, v0
	v_cmp_gt_i64_e32 vcc, s[16:17], v[18:19]
	s_and_saveexec_b64 s[18:19], vcc
	s_cbranch_execz .LBB33_20
; %bb.2:
	s_load_dword s0, s[4:5], 0xe54
	v_pk_mul_f32 v[2:3], s[12:13], s[12:13]
	v_add_f32_e32 v1, v2, v3
	s_mov_b32 s1, 0x3e800000
	v_mov_b32_e32 v18, 1.0
	s_waitcnt lgkmcnt(0)
	s_and_b32 s0, s0, 0xffff
	v_pk_add_f32 v[20:21], s[12:13], v[18:19] neg_lo:[1,0] neg_hi:[1,0]
	v_add_lshl_u32 v18, v0, s0, 2
	s_lshl_b32 s29, s0, 2
	s_lshl_b32 s30, s0, 5
	v_cmp_ngt_f32_e64 s[0:1], s1, v1
	v_cndmask_b32_e64 v1, 0, 1, s[0:1]
	s_mov_b32 s28, 0
	v_lshlrev_b32_e32 v22, 5, v0
	s_mov_b64 s[20:21], 0
	s_mov_b64 s[22:23], 0xffff
	v_cmp_ne_u32_e64 s[2:3], 1, v1
	s_branch .LBB33_4
.LBB33_3:                               ;   in Loop: Header=BB33_4 Depth=1
	v_cmp_le_i64_e32 vcc, s[16:17], v[18:19]
	v_cmp_lt_u64_e64 s[6:7], s[22:23], v[18:19]
	s_or_b64 s[6:7], vcc, s[6:7]
	s_add_u32 s24, s24, s30
	s_addc_u32 s25, s25, 0
	s_add_u32 s26, s26, s30
	s_addc_u32 s27, s27, 0
	v_mov_b32_e32 v1, s28
	s_and_b64 s[6:7], exec, s[6:7]
	v_add_co_u32_e32 v18, vcc, s29, v18
	s_or_b64 s[20:21], s[6:7], s[20:21]
	v_addc_co_u32_e32 v19, vcc, v19, v1, vcc
	global_store_dwordx4 v[24:25], v[6:9], off
	global_store_dwordx4 v[24:25], v[10:13], off offset:16
	s_andn2_b64 exec, exec, s[20:21]
	s_cbranch_execz .LBB33_20
.LBB33_4:                               ; =>This Inner Loop Header: Depth=1
	v_mov_b32_e32 v1, s25
	v_add_co_u32_e32 v24, vcc, s24, v22
	v_addc_co_u32_e32 v25, vcc, 0, v1, vcc
	v_mov_b32_e32 v1, s27
	v_add_co_u32_e32 v26, vcc, s26, v22
	v_addc_co_u32_e32 v27, vcc, 0, v1, vcc
	global_load_dwordx4 v[14:17], v[24:25], off
	global_load_dwordx4 v[6:9], v[26:27], off
	global_load_dwordx4 v[2:5], v[24:25], off offset:16
	global_load_dwordx4 v[10:13], v[26:27], off offset:16
	s_and_b64 vcc, exec, s[0:1]
	s_waitcnt vmcnt(2)
	v_pk_add_f32 v[26:27], v[6:7], v[14:15] neg_lo:[0,1] neg_hi:[0,1]
	s_cbranch_vccz .LBB33_6
; %bb.5:                                ;   in Loop: Header=BB33_4 Depth=1
	v_pk_mul_f32 v[28:29], v[20:21], v[26:27] op_sel:[0,1]
	v_pk_fma_f32 v[30:31], v[20:21], v[26:27], v[28:29] op_sel:[0,0,1] op_sel_hi:[1,1,0] neg_lo:[0,0,1] neg_hi:[0,0,1]
	v_pk_fma_f32 v[28:29], v[20:21], v[26:27], v[28:29] op_sel:[0,0,1] op_sel_hi:[1,0,0]
	v_mov_b32_e32 v31, v29
	v_pk_add_f32 v[6:7], v[6:7], v[30:31] neg_lo:[0,1] neg_hi:[0,1]
	s_cbranch_execz .LBB33_7
	s_branch .LBB33_8
.LBB33_6:                               ;   in Loop: Header=BB33_4 Depth=1
                                        ; implicit-def: $vgpr6_vgpr7
.LBB33_7:                               ;   in Loop: Header=BB33_4 Depth=1
	v_pk_mul_f32 v[6:7], v[26:27], s[12:13] op_sel:[1,0]
	v_pk_fma_f32 v[28:29], v[26:27], s[12:13], v[6:7] op_sel:[0,0,1] op_sel_hi:[1,1,0] neg_lo:[0,0,1] neg_hi:[0,0,1]
	v_pk_fma_f32 v[6:7], v[26:27], s[12:13], v[6:7] op_sel:[0,0,1] op_sel_hi:[0,1,0]
	v_mov_b32_e32 v29, v7
	v_pk_add_f32 v[6:7], v[14:15], v[28:29]
.LBB33_8:                               ;   in Loop: Header=BB33_4 Depth=1
	s_and_b64 vcc, exec, s[2:3]
	v_pk_add_f32 v[14:15], v[8:9], v[16:17] neg_lo:[0,1] neg_hi:[0,1]
	s_cbranch_vccnz .LBB33_10
; %bb.9:                                ;   in Loop: Header=BB33_4 Depth=1
	v_pk_mul_f32 v[26:27], v[20:21], v[14:15] op_sel:[0,1]
	v_pk_fma_f32 v[28:29], v[20:21], v[14:15], v[26:27] op_sel:[0,0,1] op_sel_hi:[1,1,0] neg_lo:[0,0,1] neg_hi:[0,0,1]
	v_pk_fma_f32 v[26:27], v[20:21], v[14:15], v[26:27] op_sel:[0,0,1] op_sel_hi:[1,0,0]
	v_mov_b32_e32 v29, v27
	v_pk_add_f32 v[8:9], v[8:9], v[28:29] neg_lo:[0,1] neg_hi:[0,1]
	s_cbranch_execz .LBB33_11
	s_branch .LBB33_12
.LBB33_10:                              ;   in Loop: Header=BB33_4 Depth=1
.LBB33_11:                              ;   in Loop: Header=BB33_4 Depth=1
	v_pk_mul_f32 v[8:9], v[14:15], s[12:13] op_sel:[1,0]
	v_pk_fma_f32 v[26:27], v[14:15], s[12:13], v[8:9] op_sel:[0,0,1] op_sel_hi:[1,1,0] neg_lo:[0,0,1] neg_hi:[0,0,1]
	v_pk_fma_f32 v[8:9], v[14:15], s[12:13], v[8:9] op_sel:[0,0,1] op_sel_hi:[0,1,0]
	v_mov_b32_e32 v27, v9
	v_pk_add_f32 v[8:9], v[16:17], v[26:27]
.LBB33_12:                              ;   in Loop: Header=BB33_4 Depth=1
	s_and_b64 vcc, exec, s[2:3]
	s_waitcnt vmcnt(0)
	v_pk_add_f32 v[14:15], v[10:11], v[2:3] neg_lo:[0,1] neg_hi:[0,1]
	s_cbranch_vccnz .LBB33_14
; %bb.13:                               ;   in Loop: Header=BB33_4 Depth=1
	v_pk_mul_f32 v[16:17], v[20:21], v[14:15] op_sel:[0,1]
	v_pk_fma_f32 v[26:27], v[20:21], v[14:15], v[16:17] op_sel:[0,0,1] op_sel_hi:[1,1,0] neg_lo:[0,0,1] neg_hi:[0,0,1]
	v_pk_fma_f32 v[16:17], v[20:21], v[14:15], v[16:17] op_sel:[0,0,1] op_sel_hi:[1,0,0]
	v_mov_b32_e32 v27, v17
	v_pk_add_f32 v[10:11], v[10:11], v[26:27] neg_lo:[0,1] neg_hi:[0,1]
	s_cbranch_execz .LBB33_15
	s_branch .LBB33_16
.LBB33_14:                              ;   in Loop: Header=BB33_4 Depth=1
                                        ; implicit-def: $vgpr10_vgpr11
.LBB33_15:                              ;   in Loop: Header=BB33_4 Depth=1
	v_pk_mul_f32 v[10:11], v[14:15], s[12:13] op_sel:[1,0]
	v_pk_fma_f32 v[16:17], v[14:15], s[12:13], v[10:11] op_sel:[0,0,1] op_sel_hi:[1,1,0] neg_lo:[0,0,1] neg_hi:[0,0,1]
	v_pk_fma_f32 v[10:11], v[14:15], s[12:13], v[10:11] op_sel:[0,0,1] op_sel_hi:[0,1,0]
	v_mov_b32_e32 v17, v11
	v_pk_add_f32 v[10:11], v[2:3], v[16:17]
.LBB33_16:                              ;   in Loop: Header=BB33_4 Depth=1
	s_and_b64 vcc, exec, s[2:3]
	v_pk_add_f32 v[2:3], v[12:13], v[4:5] neg_lo:[0,1] neg_hi:[0,1]
	s_cbranch_vccnz .LBB33_18
; %bb.17:                               ;   in Loop: Header=BB33_4 Depth=1
	v_pk_mul_f32 v[14:15], v[20:21], v[2:3] op_sel:[0,1]
	v_pk_fma_f32 v[16:17], v[20:21], v[2:3], v[14:15] op_sel:[0,0,1] op_sel_hi:[1,1,0] neg_lo:[0,0,1] neg_hi:[0,0,1]
	v_pk_fma_f32 v[14:15], v[20:21], v[2:3], v[14:15] op_sel:[0,0,1] op_sel_hi:[1,0,0]
	v_mov_b32_e32 v17, v15
	v_pk_add_f32 v[12:13], v[12:13], v[16:17] neg_lo:[0,1] neg_hi:[0,1]
	s_cbranch_execnz .LBB33_3
	s_branch .LBB33_19
.LBB33_18:                              ;   in Loop: Header=BB33_4 Depth=1
.LBB33_19:                              ;   in Loop: Header=BB33_4 Depth=1
	v_pk_mul_f32 v[12:13], v[2:3], s[12:13] op_sel:[1,0]
	v_pk_fma_f32 v[14:15], v[2:3], s[12:13], v[12:13] op_sel:[0,0,1] op_sel_hi:[1,1,0] neg_lo:[0,0,1] neg_hi:[0,0,1]
	v_pk_fma_f32 v[2:3], v[2:3], s[12:13], v[12:13] op_sel:[0,0,1] op_sel_hi:[0,1,0]
	v_mov_b32_e32 v15, v3
	v_pk_add_f32 v[12:13], v[4:5], v[14:15]
	s_branch .LBB33_3
.LBB33_20:
	s_or_b64 exec, exec, s[18:19]
	s_mov_b64 s[0:1], 0
.LBB33_21:
	s_andn2_b64 vcc, exec, s[0:1]
	s_cbranch_vccnz .LBB33_57
; %bb.22:
	v_cmp_lt_i64_e64 s[0:1], s[16:17], 1
	s_and_b64 vcc, exec, s[0:1]
	s_cbranch_vccnz .LBB33_57
; %bb.23:
	s_load_dword s0, s[4:5], 0xe54
	v_mov_b32_e32 v2, 0x10000
	v_mov_b32_e32 v3, 0
	v_cmp_lt_u64_e32 vcc, s[16:17], v[2:3]
	v_pk_mul_f32 v[2:3], s[12:13], s[12:13]
	s_waitcnt lgkmcnt(0)
	s_and_b32 s4, s0, 0xffff
	s_and_b64 s[0:1], vcc, exec
	v_lshlrev_b32_e32 v14, 3, v0
	v_add_f32_e32 v1, v2, v3
	s_mov_b32 s0, 0x3e800000
	v_mov_b32_e32 v17, s9
	v_add_co_u32_e32 v6, vcc, s8, v14
	v_cmp_ngt_f32_e64 s[0:1], s0, v1
	v_addc_co_u32_e32 v1, vcc, 0, v17, vcc
	v_mov_b32_e32 v15, 0
	v_mov_b32_e32 v19, s11
	v_add_co_u32_e32 v8, vcc, s10, v14
	v_addc_co_u32_e32 v7, vcc, 0, v19, vcc
	v_mad_u64_u32 v[12:13], s[2:3], s4, 24, v[14:15]
	v_add_co_u32_e32 v10, vcc, s8, v12
	v_addc_co_u32_e32 v9, vcc, v17, v13, vcc
	v_add_co_u32_e32 v12, vcc, s10, v12
	s_mul_i32 s6, s4, 3
	v_addc_co_u32_e32 v11, vcc, v19, v13, vcc
	v_add_co_u32_e32 v21, vcc, s6, v0
	v_addc_co_u32_e64 v42, s[2:3], 0, 0, vcc
	s_cselect_b32 s19, s17, 0
	s_cselect_b32 s18, s16, 0x10000
	s_lshl_b32 s2, s4, 4
	v_add_co_u32_e32 v15, vcc, s2, v14
	v_addc_co_u32_e64 v18, s[2:3], 0, 0, vcc
	v_add_co_u32_e32 v14, vcc, s8, v15
	v_addc_co_u32_e32 v13, vcc, v17, v18, vcc
	v_add_co_u32_e32 v16, vcc, s10, v15
	s_lshl_b32 s5, s4, 1
	v_addc_co_u32_e32 v15, vcc, v19, v18, vcc
	v_add_co_u32_e32 v43, vcc, s5, v0
	v_addc_co_u32_e64 v44, s[2:3], 0, 0, vcc
	v_add_co_u32_e32 v45, vcc, s4, v0
	v_lshlrev_b32_e32 v20, 3, v45
	v_addc_co_u32_e64 v46, s[2:3], 0, 0, vcc
	v_add_co_u32_e32 v18, vcc, s8, v20
	v_addc_co_u32_e32 v17, vcc, 0, v17, vcc
	v_sub_f32_e64 v2, 1.0, s12
	v_sub_f32_e64 v4, 0, s13
	v_add_co_u32_e32 v20, vcc, s10, v20
	s_mov_b32 s26, 0
	s_lshl_b32 s27, s4, 2
	s_mov_b32 s20, s12
	s_mov_b32 s21, s12
	v_mov_b32_e32 v3, v2
	v_mov_b32_e32 v5, v4
	s_mov_b32 s12, s13
	s_lshl_b32 s28, s4, 5
	v_addc_co_u32_e32 v19, vcc, 0, v19, vcc
	s_mov_b64 s[22:23], 0
	s_branch .LBB33_25
.LBB33_24:                              ;   in Loop: Header=BB33_25 Depth=1
	s_or_b64 exec, exec, s[2:3]
	s_add_u32 s22, s22, s27
	s_addc_u32 s23, s23, 0
	v_pk_mov_b32 v[22:23], s[16:17], s[16:17] op_sel:[0,1]
	v_cmp_ge_i64_e32 vcc, s[22:23], v[22:23]
	v_mov_b32_e32 v22, 0xffff
	v_mov_b32_e32 v23, 0
	v_cmp_gt_u64_e64 s[2:3], s[22:23], v[22:23]
	s_or_b64 s[2:3], vcc, s[2:3]
	v_mov_b32_e32 v22, s26
	v_add_co_u32_e32 v6, vcc, s28, v6
	v_addc_co_u32_e32 v1, vcc, v1, v22, vcc
	v_add_co_u32_e32 v8, vcc, s28, v8
	v_addc_co_u32_e32 v7, vcc, v7, v22, vcc
	;; [unrolled: 2-line block ×8, first 2 shown]
	s_and_b64 vcc, exec, s[2:3]
	s_cbranch_vccnz .LBB33_57
.LBB33_25:                              ; =>This Inner Loop Header: Depth=1
	v_mov_b32_e32 v23, s23
	v_add_co_u32_e32 v22, vcc, s22, v0
	v_addc_co_u32_e32 v23, vcc, 0, v23, vcc
	v_cmp_gt_u64_e64 s[2:3], s[18:19], v[22:23]
	v_mov_b32_e32 v26, 0
	v_mov_b32_e32 v27, 0
	;; [unrolled: 1-line block ×4, first 2 shown]
	s_and_saveexec_b64 s[4:5], s[2:3]
	s_cbranch_execz .LBB33_27
; %bb.26:                               ;   in Loop: Header=BB33_25 Depth=1
	v_mov_b32_e32 v25, s15
	v_add_co_u32_e32 v22, vcc, s14, v8
	v_addc_co_u32_e32 v23, vcc, v7, v25, vcc
	v_add_co_u32_e32 v24, vcc, s14, v6
	v_addc_co_u32_e32 v25, vcc, v1, v25, vcc
	global_load_dwordx2 v[26:27], v[24:25], off
	global_load_dwordx2 v[34:35], v[22:23], off
.LBB33_27:                              ;   in Loop: Header=BB33_25 Depth=1
	s_or_b64 exec, exec, s[4:5]
	v_mov_b32_e32 v23, s23
	v_add_co_u32_e32 v22, vcc, s22, v45
	v_addc_co_u32_e32 v23, vcc, v46, v23, vcc
	v_cmp_gt_u64_e64 s[4:5], s[18:19], v[22:23]
	v_mov_b32_e32 v22, 0
	v_mov_b32_e32 v24, 0
	;; [unrolled: 1-line block ×5, first 2 shown]
	s_and_saveexec_b64 s[6:7], s[4:5]
	s_cbranch_execz .LBB33_29
; %bb.28:                               ;   in Loop: Header=BB33_25 Depth=1
	v_mov_b32_e32 v23, s15
	v_add_co_u32_e32 v28, vcc, s14, v20
	v_addc_co_u32_e32 v29, vcc, v19, v23, vcc
	v_add_co_u32_e32 v32, vcc, s14, v18
	v_addc_co_u32_e32 v33, vcc, v17, v23, vcc
	global_load_dwordx2 v[24:25], v[32:33], off
	global_load_dwordx2 v[30:31], v[28:29], off
.LBB33_29:                              ;   in Loop: Header=BB33_25 Depth=1
	s_or_b64 exec, exec, s[6:7]
	v_mov_b32_e32 v23, s23
	v_add_co_u32_e32 v28, vcc, s22, v43
	v_addc_co_u32_e32 v29, vcc, v44, v23, vcc
	v_cmp_gt_u64_e64 s[6:7], s[18:19], v[28:29]
	v_mov_b32_e32 v23, 0
	v_mov_b32_e32 v32, 0
	;; [unrolled: 1-line block ×3, first 2 shown]
	s_and_saveexec_b64 s[8:9], s[6:7]
	s_cbranch_execz .LBB33_31
; %bb.30:                               ;   in Loop: Header=BB33_25 Depth=1
	v_mov_b32_e32 v22, s15
	v_add_co_u32_e32 v28, vcc, s14, v16
	v_addc_co_u32_e32 v29, vcc, v15, v22, vcc
	v_add_co_u32_e32 v36, vcc, s14, v14
	v_addc_co_u32_e32 v37, vcc, v13, v22, vcc
	global_load_dwordx2 v[22:23], v[36:37], off
	global_load_dwordx2 v[32:33], v[28:29], off
.LBB33_31:                              ;   in Loop: Header=BB33_25 Depth=1
	s_or_b64 exec, exec, s[8:9]
	v_mov_b32_e32 v29, s23
	v_add_co_u32_e32 v28, vcc, s22, v21
	v_addc_co_u32_e32 v29, vcc, v42, v29, vcc
	v_cmp_gt_u64_e64 s[8:9], s[18:19], v[28:29]
	v_mov_b32_e32 v28, 0
	v_mov_b32_e32 v29, v28
	;; [unrolled: 1-line block ×4, first 2 shown]
	s_and_saveexec_b64 s[10:11], s[8:9]
	s_cbranch_execz .LBB33_33
; %bb.32:                               ;   in Loop: Header=BB33_25 Depth=1
	v_mov_b32_e32 v28, s15
	v_add_co_u32_e32 v38, vcc, s14, v12
	v_addc_co_u32_e32 v39, vcc, v11, v28, vcc
	v_add_co_u32_e32 v40, vcc, s14, v10
	v_addc_co_u32_e32 v41, vcc, v9, v28, vcc
	global_load_dwordx2 v[28:29], v[40:41], off
	global_load_dwordx2 v[36:37], v[38:39], off
.LBB33_33:                              ;   in Loop: Header=BB33_25 Depth=1
	s_or_b64 exec, exec, s[10:11]
	s_waitcnt vmcnt(0)
	v_pk_add_f32 v[38:39], v[34:35], v[26:27] neg_lo:[0,1] neg_hi:[0,1]
	v_mov_b32_e32 v40, v39
	v_mov_b32_e32 v41, v38
	s_and_b64 vcc, exec, s[0:1]
	s_cbranch_vccz .LBB33_49
; %bb.34:                               ;   in Loop: Header=BB33_25 Depth=1
	v_pk_mul_f32 v[48:49], v[4:5], v[40:41]
	v_pk_fma_f32 v[50:51], v[2:3], v[38:39], v[48:49] neg_lo:[0,0,1] neg_hi:[0,0,1]
	v_pk_fma_f32 v[48:49], v[2:3], v[38:39], v[48:49]
	v_mov_b32_e32 v51, v49
	v_pk_add_f32 v[34:35], v[34:35], v[50:51] neg_lo:[0,1] neg_hi:[0,1]
	s_cbranch_execnz .LBB33_36
.LBB33_35:                              ;   in Loop: Header=BB33_25 Depth=1
	v_pk_mul_f32 v[34:35], v[40:41], s[12:13]
	v_pk_fma_f32 v[40:41], v[38:39], s[20:21], v[34:35] neg_lo:[0,0,1] neg_hi:[0,0,1]
	v_pk_fma_f32 v[34:35], v[38:39], s[20:21], v[34:35]
	v_mov_b32_e32 v41, v35
	v_pk_add_f32 v[34:35], v[26:27], v[40:41]
.LBB33_36:                              ;   in Loop: Header=BB33_25 Depth=1
	v_pk_add_f32 v[38:39], v[30:31], v[24:25] neg_lo:[0,1] neg_hi:[0,1]
	v_cndmask_b32_e64 v26, 0, 1, s[0:1]
	v_mov_b32_e32 v40, v39
	v_cmp_ne_u32_e64 s[10:11], 1, v26
	s_andn2_b64 vcc, exec, s[0:1]
	v_mov_b32_e32 v41, v38
	s_cbranch_vccnz .LBB33_50
; %bb.37:                               ;   in Loop: Header=BB33_25 Depth=1
	v_pk_mul_f32 v[26:27], v[4:5], v[40:41]
	v_pk_fma_f32 v[48:49], v[2:3], v[38:39], v[26:27] neg_lo:[0,0,1] neg_hi:[0,0,1]
	v_pk_fma_f32 v[26:27], v[2:3], v[38:39], v[26:27]
	v_mov_b32_e32 v49, v27
	v_pk_add_f32 v[26:27], v[30:31], v[48:49] neg_lo:[0,1] neg_hi:[0,1]
	s_cbranch_execnz .LBB33_39
.LBB33_38:                              ;   in Loop: Header=BB33_25 Depth=1
	v_pk_mul_f32 v[26:27], v[40:41], s[12:13]
	v_pk_fma_f32 v[30:31], v[38:39], s[20:21], v[26:27] neg_lo:[0,0,1] neg_hi:[0,0,1]
	v_pk_fma_f32 v[26:27], v[38:39], s[20:21], v[26:27]
	v_mov_b32_e32 v31, v27
	v_pk_add_f32 v[26:27], v[24:25], v[30:31]
.LBB33_39:                              ;   in Loop: Header=BB33_25 Depth=1
	v_pk_add_f32 v[30:31], v[32:33], v[22:23] neg_lo:[0,1] neg_hi:[0,1]
	v_mov_b32_e32 v38, v31
	s_and_b64 vcc, exec, s[10:11]
	v_mov_b32_e32 v39, v30
	s_cbranch_vccnz .LBB33_51
; %bb.40:                               ;   in Loop: Header=BB33_25 Depth=1
	v_pk_mul_f32 v[24:25], v[4:5], v[38:39]
	v_pk_fma_f32 v[40:41], v[2:3], v[30:31], v[24:25] neg_lo:[0,0,1] neg_hi:[0,0,1]
	v_pk_fma_f32 v[24:25], v[2:3], v[30:31], v[24:25]
	v_mov_b32_e32 v41, v25
	v_pk_add_f32 v[24:25], v[32:33], v[40:41] neg_lo:[0,1] neg_hi:[0,1]
	s_cbranch_execnz .LBB33_42
.LBB33_41:                              ;   in Loop: Header=BB33_25 Depth=1
	v_pk_mul_f32 v[24:25], v[38:39], s[12:13]
	v_pk_fma_f32 v[32:33], v[30:31], s[20:21], v[24:25] neg_lo:[0,0,1] neg_hi:[0,0,1]
	v_pk_fma_f32 v[24:25], v[30:31], s[20:21], v[24:25]
	v_mov_b32_e32 v33, v25
	v_pk_add_f32 v[24:25], v[22:23], v[32:33]
.LBB33_42:                              ;   in Loop: Header=BB33_25 Depth=1
	v_pk_add_f32 v[30:31], v[36:37], v[28:29] neg_lo:[0,1] neg_hi:[0,1]
	v_mov_b32_e32 v32, v31
	s_and_b64 vcc, exec, s[10:11]
	v_mov_b32_e32 v33, v30
	s_cbranch_vccnz .LBB33_52
; %bb.43:                               ;   in Loop: Header=BB33_25 Depth=1
	v_pk_mul_f32 v[22:23], v[4:5], v[32:33]
	v_pk_fma_f32 v[38:39], v[2:3], v[30:31], v[22:23] neg_lo:[0,0,1] neg_hi:[0,0,1]
	v_pk_fma_f32 v[22:23], v[2:3], v[30:31], v[22:23]
	v_mov_b32_e32 v39, v23
	v_pk_add_f32 v[22:23], v[36:37], v[38:39] neg_lo:[0,1] neg_hi:[0,1]
	s_cbranch_execnz .LBB33_45
.LBB33_44:                              ;   in Loop: Header=BB33_25 Depth=1
	v_pk_mul_f32 v[22:23], v[32:33], s[12:13]
	v_pk_fma_f32 v[32:33], v[30:31], s[20:21], v[22:23] neg_lo:[0,0,1] neg_hi:[0,0,1]
	v_pk_fma_f32 v[22:23], v[30:31], s[20:21], v[22:23]
	v_mov_b32_e32 v33, v23
	v_pk_add_f32 v[22:23], v[28:29], v[32:33]
.LBB33_45:                              ;   in Loop: Header=BB33_25 Depth=1
	s_and_saveexec_b64 s[10:11], s[2:3]
	s_xor_b64 s[2:3], exec, s[10:11]
	s_cbranch_execnz .LBB33_53
; %bb.46:                               ;   in Loop: Header=BB33_25 Depth=1
	s_or_b64 exec, exec, s[2:3]
	s_and_saveexec_b64 s[2:3], s[4:5]
	s_cbranch_execnz .LBB33_54
.LBB33_47:                              ;   in Loop: Header=BB33_25 Depth=1
	s_or_b64 exec, exec, s[2:3]
	s_and_saveexec_b64 s[2:3], s[6:7]
	s_cbranch_execnz .LBB33_55
.LBB33_48:                              ;   in Loop: Header=BB33_25 Depth=1
	s_or_b64 exec, exec, s[2:3]
	s_and_saveexec_b64 s[2:3], s[8:9]
	s_cbranch_execz .LBB33_24
	s_branch .LBB33_56
.LBB33_49:                              ;   in Loop: Header=BB33_25 Depth=1
                                        ; implicit-def: $vgpr34_vgpr35
	s_branch .LBB33_35
.LBB33_50:                              ;   in Loop: Header=BB33_25 Depth=1
                                        ; implicit-def: $vgpr26_vgpr27
	s_branch .LBB33_38
.LBB33_51:                              ;   in Loop: Header=BB33_25 Depth=1
                                        ; implicit-def: $vgpr24_vgpr25
	s_branch .LBB33_41
.LBB33_52:                              ;   in Loop: Header=BB33_25 Depth=1
                                        ; implicit-def: $vgpr22_vgpr23
	s_branch .LBB33_44
.LBB33_53:                              ;   in Loop: Header=BB33_25 Depth=1
	v_mov_b32_e32 v29, s15
	v_add_co_u32_e32 v28, vcc, s14, v6
	v_addc_co_u32_e32 v29, vcc, v1, v29, vcc
	global_store_dwordx2 v[28:29], v[34:35], off
	s_or_b64 exec, exec, s[2:3]
	s_and_saveexec_b64 s[2:3], s[4:5]
	s_cbranch_execz .LBB33_47
.LBB33_54:                              ;   in Loop: Header=BB33_25 Depth=1
	v_mov_b32_e32 v29, s15
	v_add_co_u32_e32 v28, vcc, s14, v18
	v_addc_co_u32_e32 v29, vcc, v17, v29, vcc
	global_store_dwordx2 v[28:29], v[26:27], off
	s_or_b64 exec, exec, s[2:3]
	s_and_saveexec_b64 s[2:3], s[6:7]
	s_cbranch_execz .LBB33_48
.LBB33_55:                              ;   in Loop: Header=BB33_25 Depth=1
	v_mov_b32_e32 v27, s15
	v_add_co_u32_e32 v26, vcc, s14, v14
	v_addc_co_u32_e32 v27, vcc, v13, v27, vcc
	global_store_dwordx2 v[26:27], v[24:25], off
	s_or_b64 exec, exec, s[2:3]
	s_and_saveexec_b64 s[2:3], s[8:9]
	s_cbranch_execz .LBB33_24
.LBB33_56:                              ;   in Loop: Header=BB33_25 Depth=1
	v_mov_b32_e32 v25, s15
	v_add_co_u32_e32 v24, vcc, s14, v10
	v_addc_co_u32_e32 v25, vcc, v9, v25, vcc
	global_store_dwordx2 v[24:25], v[22:23], off
	s_branch .LBB33_24
.LBB33_57:
	s_endpgm
	.section	.rodata,"a",@progbits
	.p2align	6, 0x0
	.amdhsa_kernel _ZN2at6native12_GLOBAL__N_125multi_tensor_apply_kernelINS1_28TensorListScalarListMetadataIN3c107complexIfEELi2EEENS1_26TernaryOpScalarListFunctorIS6_Li2ELi2ELi0EEEJNS0_11LerpFunctorIS6_EEEEEvT_T0_DpT1_
		.amdhsa_group_segment_fixed_size 0
		.amdhsa_private_segment_fixed_size 0
		.amdhsa_kernarg_size 3912
		.amdhsa_user_sgpr_count 6
		.amdhsa_user_sgpr_private_segment_buffer 1
		.amdhsa_user_sgpr_dispatch_ptr 0
		.amdhsa_user_sgpr_queue_ptr 0
		.amdhsa_user_sgpr_kernarg_segment_ptr 1
		.amdhsa_user_sgpr_dispatch_id 0
		.amdhsa_user_sgpr_flat_scratch_init 0
		.amdhsa_user_sgpr_kernarg_preload_length 0
		.amdhsa_user_sgpr_kernarg_preload_offset 0
		.amdhsa_user_sgpr_private_segment_size 0
		.amdhsa_uses_dynamic_stack 0
		.amdhsa_system_sgpr_private_segment_wavefront_offset 0
		.amdhsa_system_sgpr_workgroup_id_x 1
		.amdhsa_system_sgpr_workgroup_id_y 0
		.amdhsa_system_sgpr_workgroup_id_z 0
		.amdhsa_system_sgpr_workgroup_info 0
		.amdhsa_system_vgpr_workitem_id 0
		.amdhsa_next_free_vgpr 52
		.amdhsa_next_free_sgpr 31
		.amdhsa_accum_offset 52
		.amdhsa_reserve_vcc 1
		.amdhsa_reserve_flat_scratch 0
		.amdhsa_float_round_mode_32 0
		.amdhsa_float_round_mode_16_64 0
		.amdhsa_float_denorm_mode_32 3
		.amdhsa_float_denorm_mode_16_64 3
		.amdhsa_dx10_clamp 1
		.amdhsa_ieee_mode 1
		.amdhsa_fp16_overflow 0
		.amdhsa_tg_split 0
		.amdhsa_exception_fp_ieee_invalid_op 0
		.amdhsa_exception_fp_denorm_src 0
		.amdhsa_exception_fp_ieee_div_zero 0
		.amdhsa_exception_fp_ieee_overflow 0
		.amdhsa_exception_fp_ieee_underflow 0
		.amdhsa_exception_fp_ieee_inexact 0
		.amdhsa_exception_int_div_zero 0
	.end_amdhsa_kernel
	.section	.text._ZN2at6native12_GLOBAL__N_125multi_tensor_apply_kernelINS1_28TensorListScalarListMetadataIN3c107complexIfEELi2EEENS1_26TernaryOpScalarListFunctorIS6_Li2ELi2ELi0EEEJNS0_11LerpFunctorIS6_EEEEEvT_T0_DpT1_,"axG",@progbits,_ZN2at6native12_GLOBAL__N_125multi_tensor_apply_kernelINS1_28TensorListScalarListMetadataIN3c107complexIfEELi2EEENS1_26TernaryOpScalarListFunctorIS6_Li2ELi2ELi0EEEJNS0_11LerpFunctorIS6_EEEEEvT_T0_DpT1_,comdat
.Lfunc_end33:
	.size	_ZN2at6native12_GLOBAL__N_125multi_tensor_apply_kernelINS1_28TensorListScalarListMetadataIN3c107complexIfEELi2EEENS1_26TernaryOpScalarListFunctorIS6_Li2ELi2ELi0EEEJNS0_11LerpFunctorIS6_EEEEEvT_T0_DpT1_, .Lfunc_end33-_ZN2at6native12_GLOBAL__N_125multi_tensor_apply_kernelINS1_28TensorListScalarListMetadataIN3c107complexIfEELi2EEENS1_26TernaryOpScalarListFunctorIS6_Li2ELi2ELi0EEEJNS0_11LerpFunctorIS6_EEEEEvT_T0_DpT1_
                                        ; -- End function
	.section	.AMDGPU.csdata,"",@progbits
; Kernel info:
; codeLenInByte = 2232
; NumSgprs: 35
; NumVgprs: 52
; NumAgprs: 0
; TotalNumVgprs: 52
; ScratchSize: 0
; MemoryBound: 1
; FloatMode: 240
; IeeeMode: 1
; LDSByteSize: 0 bytes/workgroup (compile time only)
; SGPRBlocks: 4
; VGPRBlocks: 6
; NumSGPRsForWavesPerEU: 35
; NumVGPRsForWavesPerEU: 52
; AccumOffset: 52
; Occupancy: 8
; WaveLimiterHint : 1
; COMPUTE_PGM_RSRC2:SCRATCH_EN: 0
; COMPUTE_PGM_RSRC2:USER_SGPR: 6
; COMPUTE_PGM_RSRC2:TRAP_HANDLER: 0
; COMPUTE_PGM_RSRC2:TGID_X_EN: 1
; COMPUTE_PGM_RSRC2:TGID_Y_EN: 0
; COMPUTE_PGM_RSRC2:TGID_Z_EN: 0
; COMPUTE_PGM_RSRC2:TIDIG_COMP_CNT: 0
; COMPUTE_PGM_RSRC3_GFX90A:ACCUM_OFFSET: 12
; COMPUTE_PGM_RSRC3_GFX90A:TG_SPLIT: 0
	.section	.text._ZN2at6native12_GLOBAL__N_125multi_tensor_apply_kernelINS1_28TensorListScalarListMetadataIfLi2EEENS1_26TernaryOpScalarListFunctorIN3c104HalfELi2ELi2ELi0EEEJNS0_11LerpFunctorIfEEEEEvT_T0_DpT1_,"axG",@progbits,_ZN2at6native12_GLOBAL__N_125multi_tensor_apply_kernelINS1_28TensorListScalarListMetadataIfLi2EEENS1_26TernaryOpScalarListFunctorIN3c104HalfELi2ELi2ELi0EEEJNS0_11LerpFunctorIfEEEEEvT_T0_DpT1_,comdat
	.globl	_ZN2at6native12_GLOBAL__N_125multi_tensor_apply_kernelINS1_28TensorListScalarListMetadataIfLi2EEENS1_26TernaryOpScalarListFunctorIN3c104HalfELi2ELi2ELi0EEEJNS0_11LerpFunctorIfEEEEEvT_T0_DpT1_ ; -- Begin function _ZN2at6native12_GLOBAL__N_125multi_tensor_apply_kernelINS1_28TensorListScalarListMetadataIfLi2EEENS1_26TernaryOpScalarListFunctorIN3c104HalfELi2ELi2ELi0EEEJNS0_11LerpFunctorIfEEEEEvT_T0_DpT1_
	.p2align	8
	.type	_ZN2at6native12_GLOBAL__N_125multi_tensor_apply_kernelINS1_28TensorListScalarListMetadataIfLi2EEENS1_26TernaryOpScalarListFunctorIN3c104HalfELi2ELi2ELi0EEEJNS0_11LerpFunctorIfEEEEEvT_T0_DpT1_,@function
_ZN2at6native12_GLOBAL__N_125multi_tensor_apply_kernelINS1_28TensorListScalarListMetadataIfLi2EEENS1_26TernaryOpScalarListFunctorIN3c104HalfELi2ELi2ELi0EEEJNS0_11LerpFunctorIfEEEEEvT_T0_DpT1_: ; @_ZN2at6native12_GLOBAL__N_125multi_tensor_apply_kernelINS1_28TensorListScalarListMetadataIfLi2EEENS1_26TernaryOpScalarListFunctorIN3c104HalfELi2ELi2ELi0EEEJNS0_11LerpFunctorIfEEEEEvT_T0_DpT1_
; %bb.0:
	v_mov_b32_e32 v1, s6
	global_load_ubyte v1, v1, s[4:5] offset:1792
	s_add_u32 s0, s4, s6
	s_mul_hi_u32 s3, s6, 3
	s_mul_i32 s6, s6, 3
	s_addc_u32 s7, s5, 0
	s_add_u32 s2, s0, s6
	s_addc_u32 s3, s7, s3
	s_load_dword s2, s[2:3], 0x840
	s_mov_b32 s1, 0
	s_waitcnt lgkmcnt(0)
	s_ashr_i32 s3, s2, 31
	s_waitcnt vmcnt(0)
	v_readfirstlane_b32 s0, v1
	s_lshl_b32 s0, s0, 3
	s_load_dwordx2 s[6:7], s[4:5], s0 offset:0x400
	s_load_dwordx2 s[16:17], s[4:5], s0 offset:0x0
	;; [unrolled: 1-line block ×3, first 2 shown]
	s_add_u32 s0, s4, s0
	s_addc_u32 s12, s5, 0
	s_lshl_b64 s[10:11], s[2:3], 17
	v_lshlrev_b32_e32 v1, 2, v1
	s_waitcnt lgkmcnt(0)
	s_add_u32 s23, s16, s10
	v_mov_b32_e32 v3, s12
	v_sub_co_u32_e32 v2, vcc, s0, v1
	s_addc_u32 s24, s17, s11
	s_and_b32 s0, s23, 7
	v_subbrev_co_u32_e32 v1, vcc, 0, v3, vcc
	s_add_u32 s25, s8, s10
	v_readfirstlane_b32 s12, v2
	v_readfirstlane_b32 s13, v1
	s_addc_u32 s26, s9, s11
	s_and_b32 s15, s6, 3
	s_and_b32 s14, s25, 7
	s_or_b32 s0, s0, s15
	s_load_dword s22, s[12:13], 0x600
	s_lshl_b64 s[2:3], s[2:3], 16
	s_or_b32 s0, s14, s0
	s_sub_u32 s12, s6, s2
	s_subb_u32 s13, s7, s3
	s_cmp_eq_u64 s[0:1], 0
	s_mov_b64 s[2:3], -1
	s_cbranch_scc0 .LBB34_5
; %bb.1:
	v_mov_b32_e32 v3, 0
	v_lshlrev_b32_e32 v2, 2, v0
	v_cmp_gt_i64_e32 vcc, s[12:13], v[2:3]
	s_and_saveexec_b64 s[14:15], vcc
	s_cbranch_execz .LBB34_4
; %bb.2:
	s_load_dword s0, s[4:5], 0xd54
	s_waitcnt lgkmcnt(0)
	v_cmp_lt_f32_e64 vcc, |s22|, 0.5
	v_sub_f32_e64 v1, 1.0, s22
	v_lshlrev_b32_e32 v4, 3, v0
	s_mov_b64 s[18:19], 0
	s_and_b32 s0, s0, 0xffff
	v_add_lshl_u32 v2, v0, s0, 2
	s_lshl_b32 s27, s0, 2
	s_lshl_b32 s28, s0, 3
	s_mov_b64 s[20:21], 0xffff
	v_mov_b32_e32 v5, s1
.LBB34_3:                               ; =>This Inner Loop Header: Depth=1
	v_mov_b32_e32 v7, s24
	v_add_co_u32_e64 v8, s[2:3], s23, v4
	v_mov_b32_e32 v10, s26
	v_add_co_u32_e64 v6, s[0:1], s25, v4
	v_addc_co_u32_e64 v9, s[2:3], 0, v7, s[2:3]
	v_addc_co_u32_e64 v7, s[0:1], 0, v10, s[0:1]
	global_load_dwordx2 v[10:11], v[8:9], off
	global_load_dwordx2 v[12:13], v[6:7], off
	v_cmp_le_i64_e64 s[0:1], s[12:13], v[2:3]
	v_cmp_lt_u64_e64 s[2:3], s[20:21], v[2:3]
	s_or_b64 s[0:1], s[0:1], s[2:3]
	s_add_u32 s23, s23, s28
	s_addc_u32 s24, s24, 0
	s_add_u32 s25, s25, s28
	s_addc_u32 s26, s26, 0
	v_add_co_u32_e64 v2, s[6:7], s27, v2
	s_and_b64 s[0:1], exec, s[0:1]
	v_addc_co_u32_e64 v3, s[6:7], v3, v5, s[6:7]
	s_or_b64 s[18:19], s[0:1], s[18:19]
	s_waitcnt vmcnt(1)
	v_cvt_f32_f16_e32 v6, v10
	s_waitcnt vmcnt(0)
	v_cvt_f32_f16_e32 v7, v12
	v_cvt_f32_f16_sdwa v14, v10 dst_sel:DWORD dst_unused:UNUSED_PAD src0_sel:WORD_1
	v_cvt_f32_f16_sdwa v15, v12 dst_sel:DWORD dst_unused:UNUSED_PAD src0_sel:WORD_1
	v_cvt_f32_f16_e32 v16, v11
	v_cvt_f32_f16_e32 v17, v13
	v_cvt_f32_f16_sdwa v18, v11 dst_sel:DWORD dst_unused:UNUSED_PAD src0_sel:WORD_1
	v_cvt_f32_f16_sdwa v19, v13 dst_sel:DWORD dst_unused:UNUSED_PAD src0_sel:WORD_1
	v_sub_f32_e32 v6, v7, v6
	v_sub_f32_e32 v7, v15, v14
	;; [unrolled: 1-line block ×4, first 2 shown]
	v_fma_mix_f32 v16, s22, v6, v10 op_sel_hi:[0,0,1]
	v_fma_mix_f32 v6, -v1, v6, v12 op_sel_hi:[0,0,1]
	v_fma_mix_f32 v10, s22, v7, v10 op_sel:[0,0,1] op_sel_hi:[0,0,1]
	v_fma_mix_f32 v7, -v1, v7, v12 op_sel:[0,0,1] op_sel_hi:[0,0,1]
	v_fma_mix_f32 v12, s22, v14, v11 op_sel_hi:[0,0,1]
	v_fma_mix_f32 v14, -v1, v14, v13 op_sel_hi:[0,0,1]
	v_fma_mix_f32 v11, s22, v15, v11 op_sel:[0,0,1] op_sel_hi:[0,0,1]
	v_fma_mix_f32 v13, -v1, v15, v13 op_sel:[0,0,1] op_sel_hi:[0,0,1]
	v_cndmask_b32_e32 v6, v6, v16, vcc
	v_cndmask_b32_e32 v7, v7, v10, vcc
	;; [unrolled: 1-line block ×4, first 2 shown]
	v_cvt_f16_f32_e32 v6, v6
	v_cvt_f16_f32_e32 v10, v10
	;; [unrolled: 1-line block ×4, first 2 shown]
	v_pack_b32_f16 v7, v10, v11
	v_pack_b32_f16 v6, v6, v12
	global_store_dwordx2 v[8:9], v[6:7], off
	s_andn2_b64 exec, exec, s[18:19]
	s_cbranch_execnz .LBB34_3
.LBB34_4:
	s_or_b64 exec, exec, s[14:15]
	s_mov_b64 s[2:3], 0
.LBB34_5:
	s_andn2_b64 vcc, exec, s[2:3]
	s_cbranch_vccnz .LBB34_25
; %bb.6:
	v_cmp_lt_i64_e64 s[0:1], s[12:13], 1
	s_and_b64 vcc, exec, s[0:1]
	s_cbranch_vccnz .LBB34_25
; %bb.7:
	s_load_dword s0, s[4:5], 0xd54
	v_mov_b32_e32 v2, 0x10000
	v_mov_b32_e32 v3, 0
	v_cmp_lt_u64_e32 vcc, s[12:13], v[2:3]
	v_lshlrev_b32_e32 v10, 1, v0
	s_waitcnt lgkmcnt(0)
	s_and_b32 s4, s0, 0xffff
	s_and_b64 s[0:1], vcc, exec
	v_mov_b32_e32 v13, s17
	v_add_co_u32_e32 v2, vcc, s16, v10
	v_addc_co_u32_e32 v1, vcc, 0, v13, vcc
	v_mov_b32_e32 v11, 0
	v_mov_b32_e32 v15, s9
	v_add_co_u32_e32 v4, vcc, s8, v10
	v_addc_co_u32_e32 v3, vcc, 0, v15, vcc
	v_mad_u64_u32 v[8:9], s[2:3], s4, 6, v[10:11]
	v_add_co_u32_e32 v6, vcc, s16, v8
	v_addc_co_u32_e32 v5, vcc, v13, v9, vcc
	v_add_co_u32_e32 v8, vcc, s8, v8
	s_mul_i32 s6, s4, 3
	v_addc_co_u32_e32 v7, vcc, v15, v9, vcc
	s_cselect_b32 s15, s13, 0
	s_cselect_b32 s14, s12, 0x10000
	s_lshl_b32 s21, s4, 2
	v_add_co_u32_e32 v18, vcc, s6, v0
	v_addc_co_u32_e64 v19, s[2:3], 0, 0, vcc
	v_add_co_u32_e32 v11, vcc, s21, v10
	v_addc_co_u32_e64 v14, s[2:3], 0, 0, vcc
	v_add_co_u32_e32 v10, vcc, s16, v11
	v_addc_co_u32_e32 v9, vcc, v13, v14, vcc
	v_add_co_u32_e32 v12, vcc, s8, v11
	s_lshl_b32 s5, s4, 1
	v_addc_co_u32_e32 v11, vcc, v15, v14, vcc
	v_add_co_u32_e32 v20, vcc, s5, v0
	v_addc_co_u32_e64 v21, s[2:3], 0, 0, vcc
	v_add_co_u32_e32 v22, vcc, s4, v0
	v_lshlrev_b32_e32 v16, 1, v22
	v_addc_co_u32_e64 v23, s[2:3], 0, 0, vcc
	v_add_co_u32_e32 v14, vcc, s16, v16
	v_addc_co_u32_e32 v13, vcc, 0, v13, vcc
	v_add_co_u32_e32 v16, vcc, s8, v16
	s_mov_b32 s20, 0
	v_cmp_lt_f32_e64 s[0:1], |s22|, 0.5
	v_sub_f32_e64 v17, 1.0, s22
	s_lshl_b32 s23, s4, 3
	v_addc_co_u32_e32 v15, vcc, 0, v15, vcc
	s_mov_b64 s[16:17], 0
	s_branch .LBB34_9
.LBB34_8:                               ;   in Loop: Header=BB34_9 Depth=1
	s_or_b64 exec, exec, s[2:3]
	s_add_u32 s16, s16, s21
	s_addc_u32 s17, s17, 0
	s_waitcnt vmcnt(1)
	v_pk_mov_b32 v[24:25], s[12:13], s[12:13] op_sel:[0,1]
	v_cmp_ge_i64_e32 vcc, s[16:17], v[24:25]
	v_mov_b32_e32 v24, 0xffff
	v_mov_b32_e32 v25, 0
	v_cmp_gt_u64_e64 s[2:3], s[16:17], v[24:25]
	s_or_b64 s[2:3], vcc, s[2:3]
	v_mov_b32_e32 v24, s20
	v_add_co_u32_e32 v2, vcc, s23, v2
	v_addc_co_u32_e32 v1, vcc, v1, v24, vcc
	v_add_co_u32_e32 v4, vcc, s23, v4
	v_addc_co_u32_e32 v3, vcc, v3, v24, vcc
	;; [unrolled: 2-line block ×8, first 2 shown]
	s_and_b64 vcc, exec, s[2:3]
	s_cbranch_vccnz .LBB34_25
.LBB34_9:                               ; =>This Inner Loop Header: Depth=1
	v_mov_b32_e32 v25, s17
	v_add_co_u32_e32 v24, vcc, s16, v0
	v_addc_co_u32_e32 v25, vcc, 0, v25, vcc
	v_cmp_gt_u64_e32 vcc, s[14:15], v[24:25]
	v_mov_b32_e32 v25, 0
	s_waitcnt vmcnt(0)
	v_mov_b32_e32 v26, 0
	s_and_saveexec_b64 s[4:5], vcc
	s_cbranch_execz .LBB34_11
; %bb.10:                               ;   in Loop: Header=BB34_9 Depth=1
	v_mov_b32_e32 v24, s11
	v_add_co_u32_e64 v28, s[2:3], s10, v4
	v_addc_co_u32_e64 v29, s[2:3], v3, v24, s[2:3]
	v_add_co_u32_e64 v30, s[2:3], s10, v2
	v_addc_co_u32_e64 v31, s[2:3], v1, v24, s[2:3]
	global_load_ushort v25, v[30:31], off
	global_load_ushort v26, v[28:29], off
.LBB34_11:                              ;   in Loop: Header=BB34_9 Depth=1
	s_or_b64 exec, exec, s[4:5]
	v_mov_b32_e32 v24, s17
	v_add_co_u32_e64 v28, s[2:3], s16, v22
	v_addc_co_u32_e64 v29, s[2:3], v23, v24, s[2:3]
	v_cmp_gt_u64_e64 s[2:3], s[14:15], v[28:29]
	v_mov_b32_e32 v24, 0
	v_mov_b32_e32 v27, 0
	;; [unrolled: 1-line block ×3, first 2 shown]
	s_and_saveexec_b64 s[6:7], s[2:3]
	s_cbranch_execz .LBB34_13
; %bb.12:                               ;   in Loop: Header=BB34_9 Depth=1
	v_mov_b32_e32 v27, s11
	v_add_co_u32_e64 v30, s[4:5], s10, v16
	v_addc_co_u32_e64 v31, s[4:5], v15, v27, s[4:5]
	v_add_co_u32_e64 v32, s[4:5], s10, v14
	v_addc_co_u32_e64 v33, s[4:5], v13, v27, s[4:5]
	global_load_ushort v27, v[32:33], off
	global_load_ushort v28, v[30:31], off
.LBB34_13:                              ;   in Loop: Header=BB34_9 Depth=1
	s_or_b64 exec, exec, s[6:7]
	v_mov_b32_e32 v29, s17
	v_add_co_u32_e64 v30, s[4:5], s16, v20
	v_addc_co_u32_e64 v31, s[4:5], v21, v29, s[4:5]
	v_cmp_gt_u64_e64 s[4:5], s[14:15], v[30:31]
	v_mov_b32_e32 v29, 0
	s_and_saveexec_b64 s[8:9], s[4:5]
	s_cbranch_execz .LBB34_15
; %bb.14:                               ;   in Loop: Header=BB34_9 Depth=1
	v_mov_b32_e32 v24, s11
	v_add_co_u32_e64 v30, s[6:7], s10, v12
	v_addc_co_u32_e64 v31, s[6:7], v11, v24, s[6:7]
	v_add_co_u32_e64 v32, s[6:7], s10, v10
	v_addc_co_u32_e64 v33, s[6:7], v9, v24, s[6:7]
	global_load_ushort v24, v[32:33], off
	global_load_ushort v29, v[30:31], off
.LBB34_15:                              ;   in Loop: Header=BB34_9 Depth=1
	s_or_b64 exec, exec, s[8:9]
	v_mov_b32_e32 v31, s17
	v_add_co_u32_e64 v30, s[6:7], s16, v18
	v_addc_co_u32_e64 v31, s[6:7], v19, v31, s[6:7]
	v_cmp_gt_u64_e64 s[6:7], s[14:15], v[30:31]
	v_mov_b32_e32 v30, 0
	v_mov_b32_e32 v31, 0
	s_and_saveexec_b64 s[18:19], s[6:7]
	s_cbranch_execnz .LBB34_20
; %bb.16:                               ;   in Loop: Header=BB34_9 Depth=1
	s_or_b64 exec, exec, s[18:19]
	s_and_saveexec_b64 s[8:9], vcc
	s_cbranch_execnz .LBB34_21
.LBB34_17:                              ;   in Loop: Header=BB34_9 Depth=1
	s_or_b64 exec, exec, s[8:9]
	s_and_saveexec_b64 s[8:9], s[2:3]
	s_cbranch_execnz .LBB34_22
.LBB34_18:                              ;   in Loop: Header=BB34_9 Depth=1
	s_or_b64 exec, exec, s[8:9]
	s_and_saveexec_b64 s[2:3], s[4:5]
	s_cbranch_execnz .LBB34_23
.LBB34_19:                              ;   in Loop: Header=BB34_9 Depth=1
	s_or_b64 exec, exec, s[2:3]
	s_and_saveexec_b64 s[2:3], s[6:7]
	s_cbranch_execz .LBB34_8
	s_branch .LBB34_24
.LBB34_20:                              ;   in Loop: Header=BB34_9 Depth=1
	v_mov_b32_e32 v30, s11
	v_add_co_u32_e64 v32, s[8:9], s10, v8
	v_addc_co_u32_e64 v33, s[8:9], v7, v30, s[8:9]
	v_add_co_u32_e64 v34, s[8:9], s10, v6
	v_addc_co_u32_e64 v35, s[8:9], v5, v30, s[8:9]
	global_load_ushort v30, v[34:35], off
	global_load_ushort v31, v[32:33], off
	s_or_b64 exec, exec, s[18:19]
	s_and_saveexec_b64 s[8:9], vcc
	s_cbranch_execz .LBB34_17
.LBB34_21:                              ;   in Loop: Header=BB34_9 Depth=1
	s_waitcnt vmcnt(0)
	v_cvt_f32_f16_e32 v32, v26
	v_cvt_f32_f16_e32 v33, v25
	v_mov_b32_e32 v34, s11
	v_sub_f32_e32 v32, v32, v33
	v_fma_mix_f32 v25, s22, v32, v25 op_sel_hi:[0,0,1]
	v_fma_mix_f32 v26, -v17, v32, v26 op_sel_hi:[0,0,1]
	v_cndmask_b32_e64 v25, v26, v25, s[0:1]
	v_cvt_f16_f32_e32 v25, v25
	v_add_co_u32_e32 v32, vcc, s10, v2
	v_addc_co_u32_e32 v33, vcc, v1, v34, vcc
	global_store_short v[32:33], v25, off
	s_or_b64 exec, exec, s[8:9]
	s_and_saveexec_b64 s[8:9], s[2:3]
	s_cbranch_execz .LBB34_18
.LBB34_22:                              ;   in Loop: Header=BB34_9 Depth=1
	s_waitcnt vmcnt(1)
	v_cvt_f32_f16_e32 v25, v27
	s_waitcnt vmcnt(0)
	v_cvt_f32_f16_e32 v26, v28
	v_mov_b32_e32 v32, s11
	v_sub_f32_e32 v25, v26, v25
	v_fma_mix_f32 v26, s22, v25, v27 op_sel_hi:[0,0,1]
	v_fma_mix_f32 v25, -v17, v25, v28 op_sel_hi:[0,0,1]
	v_cndmask_b32_e64 v25, v25, v26, s[0:1]
	v_cvt_f16_f32_e32 v25, v25
	v_add_co_u32_e32 v26, vcc, s10, v14
	v_addc_co_u32_e32 v27, vcc, v13, v32, vcc
	global_store_short v[26:27], v25, off
	s_or_b64 exec, exec, s[8:9]
	s_and_saveexec_b64 s[2:3], s[4:5]
	s_cbranch_execz .LBB34_19
.LBB34_23:                              ;   in Loop: Header=BB34_9 Depth=1
	s_waitcnt vmcnt(1)
	v_cvt_f32_f16_e32 v25, v24
	s_waitcnt vmcnt(0)
	v_cvt_f32_f16_e32 v26, v29
	v_mov_b32_e32 v27, s11
	v_sub_f32_e32 v25, v26, v25
	v_fma_mix_f32 v24, s22, v25, v24 op_sel_hi:[0,0,1]
	v_fma_mix_f32 v25, -v17, v25, v29 op_sel_hi:[0,0,1]
	v_cndmask_b32_e64 v24, v25, v24, s[0:1]
	v_cvt_f16_f32_e32 v26, v24
	v_add_co_u32_e32 v24, vcc, s10, v10
	v_addc_co_u32_e32 v25, vcc, v9, v27, vcc
	global_store_short v[24:25], v26, off
	s_or_b64 exec, exec, s[2:3]
	s_and_saveexec_b64 s[2:3], s[6:7]
	s_cbranch_execz .LBB34_8
.LBB34_24:                              ;   in Loop: Header=BB34_9 Depth=1
	s_waitcnt vmcnt(1)
	v_cvt_f32_f16_e32 v24, v30
	s_waitcnt vmcnt(0)
	v_cvt_f32_f16_e32 v25, v31
	v_mov_b32_e32 v26, s11
	v_sub_f32_e32 v24, v25, v24
	v_fma_mix_f32 v25, s22, v24, v30 op_sel_hi:[0,0,1]
	v_fma_mix_f32 v24, -v17, v24, v31 op_sel_hi:[0,0,1]
	v_cndmask_b32_e64 v24, v24, v25, s[0:1]
	v_cvt_f16_f32_e32 v27, v24
	v_add_co_u32_e32 v24, vcc, s10, v6
	v_addc_co_u32_e32 v25, vcc, v5, v26, vcc
	global_store_short v[24:25], v27, off
	s_branch .LBB34_8
.LBB34_25:
	s_endpgm
	.section	.rodata,"a",@progbits
	.p2align	6, 0x0
	.amdhsa_kernel _ZN2at6native12_GLOBAL__N_125multi_tensor_apply_kernelINS1_28TensorListScalarListMetadataIfLi2EEENS1_26TernaryOpScalarListFunctorIN3c104HalfELi2ELi2ELi0EEEJNS0_11LerpFunctorIfEEEEEvT_T0_DpT1_
		.amdhsa_group_segment_fixed_size 0
		.amdhsa_private_segment_fixed_size 0
		.amdhsa_kernarg_size 3656
		.amdhsa_user_sgpr_count 6
		.amdhsa_user_sgpr_private_segment_buffer 1
		.amdhsa_user_sgpr_dispatch_ptr 0
		.amdhsa_user_sgpr_queue_ptr 0
		.amdhsa_user_sgpr_kernarg_segment_ptr 1
		.amdhsa_user_sgpr_dispatch_id 0
		.amdhsa_user_sgpr_flat_scratch_init 0
		.amdhsa_user_sgpr_kernarg_preload_length 0
		.amdhsa_user_sgpr_kernarg_preload_offset 0
		.amdhsa_user_sgpr_private_segment_size 0
		.amdhsa_uses_dynamic_stack 0
		.amdhsa_system_sgpr_private_segment_wavefront_offset 0
		.amdhsa_system_sgpr_workgroup_id_x 1
		.amdhsa_system_sgpr_workgroup_id_y 0
		.amdhsa_system_sgpr_workgroup_id_z 0
		.amdhsa_system_sgpr_workgroup_info 0
		.amdhsa_system_vgpr_workitem_id 0
		.amdhsa_next_free_vgpr 36
		.amdhsa_next_free_sgpr 29
		.amdhsa_accum_offset 36
		.amdhsa_reserve_vcc 1
		.amdhsa_reserve_flat_scratch 0
		.amdhsa_float_round_mode_32 0
		.amdhsa_float_round_mode_16_64 0
		.amdhsa_float_denorm_mode_32 3
		.amdhsa_float_denorm_mode_16_64 3
		.amdhsa_dx10_clamp 1
		.amdhsa_ieee_mode 1
		.amdhsa_fp16_overflow 0
		.amdhsa_tg_split 0
		.amdhsa_exception_fp_ieee_invalid_op 0
		.amdhsa_exception_fp_denorm_src 0
		.amdhsa_exception_fp_ieee_div_zero 0
		.amdhsa_exception_fp_ieee_overflow 0
		.amdhsa_exception_fp_ieee_underflow 0
		.amdhsa_exception_fp_ieee_inexact 0
		.amdhsa_exception_int_div_zero 0
	.end_amdhsa_kernel
	.section	.text._ZN2at6native12_GLOBAL__N_125multi_tensor_apply_kernelINS1_28TensorListScalarListMetadataIfLi2EEENS1_26TernaryOpScalarListFunctorIN3c104HalfELi2ELi2ELi0EEEJNS0_11LerpFunctorIfEEEEEvT_T0_DpT1_,"axG",@progbits,_ZN2at6native12_GLOBAL__N_125multi_tensor_apply_kernelINS1_28TensorListScalarListMetadataIfLi2EEENS1_26TernaryOpScalarListFunctorIN3c104HalfELi2ELi2ELi0EEEJNS0_11LerpFunctorIfEEEEEvT_T0_DpT1_,comdat
.Lfunc_end34:
	.size	_ZN2at6native12_GLOBAL__N_125multi_tensor_apply_kernelINS1_28TensorListScalarListMetadataIfLi2EEENS1_26TernaryOpScalarListFunctorIN3c104HalfELi2ELi2ELi0EEEJNS0_11LerpFunctorIfEEEEEvT_T0_DpT1_, .Lfunc_end34-_ZN2at6native12_GLOBAL__N_125multi_tensor_apply_kernelINS1_28TensorListScalarListMetadataIfLi2EEENS1_26TernaryOpScalarListFunctorIN3c104HalfELi2ELi2ELi0EEEJNS0_11LerpFunctorIfEEEEEvT_T0_DpT1_
                                        ; -- End function
	.section	.AMDGPU.csdata,"",@progbits
; Kernel info:
; codeLenInByte = 1768
; NumSgprs: 33
; NumVgprs: 36
; NumAgprs: 0
; TotalNumVgprs: 36
; ScratchSize: 0
; MemoryBound: 0
; FloatMode: 240
; IeeeMode: 1
; LDSByteSize: 0 bytes/workgroup (compile time only)
; SGPRBlocks: 4
; VGPRBlocks: 4
; NumSGPRsForWavesPerEU: 33
; NumVGPRsForWavesPerEU: 36
; AccumOffset: 36
; Occupancy: 8
; WaveLimiterHint : 0
; COMPUTE_PGM_RSRC2:SCRATCH_EN: 0
; COMPUTE_PGM_RSRC2:USER_SGPR: 6
; COMPUTE_PGM_RSRC2:TRAP_HANDLER: 0
; COMPUTE_PGM_RSRC2:TGID_X_EN: 1
; COMPUTE_PGM_RSRC2:TGID_Y_EN: 0
; COMPUTE_PGM_RSRC2:TGID_Z_EN: 0
; COMPUTE_PGM_RSRC2:TIDIG_COMP_CNT: 0
; COMPUTE_PGM_RSRC3_GFX90A:ACCUM_OFFSET: 8
; COMPUTE_PGM_RSRC3_GFX90A:TG_SPLIT: 0
	.section	.text._ZN2at6native12_GLOBAL__N_125multi_tensor_apply_kernelINS1_28TensorListScalarListMetadataIfLi2EEENS1_26TernaryOpScalarListFunctorIN3c108BFloat16ELi2ELi2ELi0EEEJNS0_11LerpFunctorIfEEEEEvT_T0_DpT1_,"axG",@progbits,_ZN2at6native12_GLOBAL__N_125multi_tensor_apply_kernelINS1_28TensorListScalarListMetadataIfLi2EEENS1_26TernaryOpScalarListFunctorIN3c108BFloat16ELi2ELi2ELi0EEEJNS0_11LerpFunctorIfEEEEEvT_T0_DpT1_,comdat
	.globl	_ZN2at6native12_GLOBAL__N_125multi_tensor_apply_kernelINS1_28TensorListScalarListMetadataIfLi2EEENS1_26TernaryOpScalarListFunctorIN3c108BFloat16ELi2ELi2ELi0EEEJNS0_11LerpFunctorIfEEEEEvT_T0_DpT1_ ; -- Begin function _ZN2at6native12_GLOBAL__N_125multi_tensor_apply_kernelINS1_28TensorListScalarListMetadataIfLi2EEENS1_26TernaryOpScalarListFunctorIN3c108BFloat16ELi2ELi2ELi0EEEJNS0_11LerpFunctorIfEEEEEvT_T0_DpT1_
	.p2align	8
	.type	_ZN2at6native12_GLOBAL__N_125multi_tensor_apply_kernelINS1_28TensorListScalarListMetadataIfLi2EEENS1_26TernaryOpScalarListFunctorIN3c108BFloat16ELi2ELi2ELi0EEEJNS0_11LerpFunctorIfEEEEEvT_T0_DpT1_,@function
_ZN2at6native12_GLOBAL__N_125multi_tensor_apply_kernelINS1_28TensorListScalarListMetadataIfLi2EEENS1_26TernaryOpScalarListFunctorIN3c108BFloat16ELi2ELi2ELi0EEEJNS0_11LerpFunctorIfEEEEEvT_T0_DpT1_: ; @_ZN2at6native12_GLOBAL__N_125multi_tensor_apply_kernelINS1_28TensorListScalarListMetadataIfLi2EEENS1_26TernaryOpScalarListFunctorIN3c108BFloat16ELi2ELi2ELi0EEEJNS0_11LerpFunctorIfEEEEEvT_T0_DpT1_
; %bb.0:
	v_mov_b32_e32 v1, s6
	global_load_ubyte v1, v1, s[4:5] offset:1792
	s_add_u32 s0, s4, s6
	s_mul_hi_u32 s1, s6, 3
	s_mul_i32 s6, s6, 3
	s_addc_u32 s2, s5, 0
	s_add_u32 s0, s0, s6
	s_addc_u32 s1, s2, s1
	s_load_dword s0, s[0:1], 0x840
	s_mov_b32 s3, 0
	s_waitcnt vmcnt(0)
	v_readfirstlane_b32 s1, v1
	s_lshl_b32 s2, s1, 3
	s_load_dwordx2 s[6:7], s[4:5], s2 offset:0x400
	s_waitcnt lgkmcnt(0)
	s_ashr_i32 s1, s0, 31
	s_load_dwordx2 s[16:17], s[4:5], s2 offset:0x0
	s_load_dwordx2 s[8:9], s[4:5], s2 offset:0x200
	s_add_u32 s2, s4, s2
	v_lshlrev_b32_e32 v1, 2, v1
	s_addc_u32 s12, s5, 0
	v_mov_b32_e32 v3, s12
	v_sub_co_u32_e32 v2, vcc, s2, v1
	v_subbrev_co_u32_e32 v1, vcc, 0, v3, vcc
	v_readfirstlane_b32 s12, v2
	s_waitcnt lgkmcnt(0)
	s_and_b32 s2, s16, 7
	s_and_b32 s15, s6, 3
	v_readfirstlane_b32 s13, v1
	s_and_b32 s14, s8, 7
	s_or_b32 s2, s2, s15
	s_load_dword s22, s[12:13], 0x600
	s_lshl_b64 s[10:11], s[0:1], 17
	s_lshl_b64 s[0:1], s[0:1], 16
	s_or_b32 s2, s14, s2
	s_sub_u32 s12, s6, s0
	s_subb_u32 s13, s7, s1
	s_cmp_eq_u64 s[2:3], 0
	s_mov_b64 s[0:1], -1
	s_cbranch_scc0 .LBB35_5
; %bb.1:
	v_mov_b32_e32 v3, 0
	v_lshlrev_b32_e32 v2, 2, v0
	v_cmp_gt_i64_e32 vcc, s[12:13], v[2:3]
	s_and_saveexec_b64 s[14:15], vcc
	s_cbranch_execz .LBB35_4
; %bb.2:
	s_load_dword s0, s[4:5], 0xd54
	v_lshlrev_b32_e32 v1, 3, v0
	v_mov_b32_e32 v2, s11
	s_waitcnt lgkmcnt(0)
	v_cmp_lt_f32_e64 vcc, |s22|, 0.5
	v_sub_f32_e64 v5, 1.0, s22
	s_and_b32 s2, s0, 0xffff
	v_add_co_u32_e64 v4, s[0:1], s10, v1
	v_addc_co_u32_e64 v1, s[0:1], 0, v2, s[0:1]
	s_lshl_b32 s23, s2, 3
	v_add_lshl_u32 v2, v0, s2, 2
	s_lshl_b32 s24, s2, 2
	s_mov_b64 s[18:19], 0
	v_mov_b32_e32 v6, s17
	v_mov_b32_e32 v7, s9
	s_movk_i32 s25, 0x7fff
	v_mov_b32_e32 v8, 0x7fc0
	v_mov_b32_e32 v9, 0x7fc00000
	s_mov_b64 s[20:21], 0xffff
	v_mov_b32_e32 v10, s3
	v_mov_b32_e32 v11, s3
.LBB35_3:                               ; =>This Inner Loop Header: Depth=1
	v_add_co_u32_e64 v12, s[0:1], s16, v4
	v_addc_co_u32_e64 v13, s[0:1], v6, v1, s[0:1]
	v_add_co_u32_e64 v14, s[0:1], s8, v4
	v_addc_co_u32_e64 v15, s[0:1], v7, v1, s[0:1]
	global_load_dwordx2 v[16:17], v[12:13], off
	global_load_dwordx2 v[18:19], v[14:15], off
	v_add_co_u32_e64 v4, s[6:7], s23, v4
	v_cmp_le_i64_e64 s[0:1], s[12:13], v[2:3]
	v_cmp_lt_u64_e64 s[2:3], s[20:21], v[2:3]
	v_addc_co_u32_e64 v1, s[6:7], v1, v10, s[6:7]
	v_add_co_u32_e64 v2, s[6:7], s24, v2
	s_or_b64 s[0:1], s[0:1], s[2:3]
	v_addc_co_u32_e64 v3, s[6:7], v3, v11, s[6:7]
	s_and_b64 s[0:1], exec, s[0:1]
	s_or_b64 s[18:19], s[0:1], s[18:19]
	s_waitcnt vmcnt(1)
	v_lshlrev_b32_e32 v14, 16, v16
	s_waitcnt vmcnt(0)
	v_lshlrev_b32_e32 v15, 16, v18
	v_and_b32_e32 v20, 0xffff0000, v16
	v_and_b32_e32 v21, 0xffff0000, v18
	v_alignbit_b32 v16, v17, v16, 16
	v_alignbit_b32 v18, v19, v18, 16
	v_and_b32_e32 v17, 0xffff0000, v17
	v_and_b32_e32 v19, 0xffff0000, v19
	v_sub_f32_e32 v22, v15, v14
	v_sub_f32_e32 v23, v21, v20
	v_and_b32_e32 v16, 0xffff0000, v16
	v_and_b32_e32 v18, 0xffff0000, v18
	v_sub_f32_e32 v24, v19, v17
	v_fmac_f32_e32 v14, s22, v22
	v_fma_f32 v15, -v5, v22, v15
	v_fmac_f32_e32 v20, s22, v23
	v_fma_f32 v21, -v5, v23, v21
	v_sub_f32_e32 v22, v18, v16
	v_fmac_f32_e32 v17, s22, v24
	v_fma_f32 v19, -v5, v24, v19
	v_cndmask_b32_e32 v14, v15, v14, vcc
	v_cndmask_b32_e32 v15, v21, v20, vcc
	v_fmac_f32_e32 v16, s22, v22
	v_fma_f32 v18, -v5, v22, v18
	v_cndmask_b32_e32 v17, v19, v17, vcc
	v_bfe_u32 v19, v14, 16, 1
	v_bfe_u32 v20, v15, 16, 1
	v_cndmask_b32_e32 v16, v18, v16, vcc
	v_bfe_u32 v18, v17, 16, 1
	v_add3_u32 v19, v14, v19, s25
	v_add3_u32 v20, v15, v20, s25
	v_bfe_u32 v21, v16, 16, 1
	v_add3_u32 v18, v17, v18, s25
	v_lshrrev_b32_e32 v19, 16, v19
	v_and_b32_e32 v20, 0xffff0000, v20
	v_cmp_o_f32_e64 s[0:1], v15, v15
	v_add3_u32 v15, v16, v21, s25
	v_cmp_o_f32_e64 s[6:7], v14, v14
	v_and_b32_e32 v18, 0xffff0000, v18
	v_cmp_o_f32_e64 s[2:3], v17, v17
	v_cndmask_b32_e64 v14, v8, v19, s[6:7]
	v_cndmask_b32_e64 v17, v9, v20, s[0:1]
	v_lshrrev_b32_e32 v15, 16, v15
	v_cmp_o_f32_e64 s[0:1], v16, v16
	v_cndmask_b32_e64 v18, v9, v18, s[2:3]
	v_or_b32_e32 v14, v14, v17
	v_cndmask_b32_e64 v15, v8, v15, s[0:1]
	v_or3_b32 v15, 0, v15, v18
	v_or3_b32 v14, v14, 0, 0
	global_store_dwordx2 v[12:13], v[14:15], off
	s_andn2_b64 exec, exec, s[18:19]
	s_cbranch_execnz .LBB35_3
.LBB35_4:
	s_or_b64 exec, exec, s[14:15]
	s_mov_b64 s[0:1], 0
.LBB35_5:
	s_andn2_b64 vcc, exec, s[0:1]
	s_cbranch_vccnz .LBB35_25
; %bb.6:
	v_cmp_lt_i64_e64 s[0:1], s[12:13], 1
	s_and_b64 vcc, exec, s[0:1]
	s_cbranch_vccnz .LBB35_25
; %bb.7:
	s_load_dword s0, s[4:5], 0xd54
	v_mov_b32_e32 v2, 0x10000
	v_mov_b32_e32 v3, 0
	v_cmp_lt_u64_e32 vcc, s[12:13], v[2:3]
	v_lshlrev_b32_e32 v10, 1, v0
	s_waitcnt lgkmcnt(0)
	s_and_b32 s4, s0, 0xffff
	s_and_b64 s[0:1], vcc, exec
	v_mov_b32_e32 v13, s17
	v_add_co_u32_e32 v2, vcc, s16, v10
	v_addc_co_u32_e32 v1, vcc, 0, v13, vcc
	v_mov_b32_e32 v11, 0
	v_mov_b32_e32 v15, s9
	v_add_co_u32_e32 v4, vcc, s8, v10
	v_addc_co_u32_e32 v3, vcc, 0, v15, vcc
	v_mad_u64_u32 v[8:9], s[2:3], s4, 6, v[10:11]
	v_add_co_u32_e32 v6, vcc, s16, v8
	v_addc_co_u32_e32 v5, vcc, v13, v9, vcc
	v_add_co_u32_e32 v8, vcc, s8, v8
	s_mul_i32 s6, s4, 3
	v_addc_co_u32_e32 v7, vcc, v15, v9, vcc
	s_cselect_b32 s15, s13, 0
	s_cselect_b32 s14, s12, 0x10000
	s_lshl_b32 s21, s4, 2
	v_add_co_u32_e32 v20, vcc, s6, v0
	v_addc_co_u32_e64 v21, s[2:3], 0, 0, vcc
	v_add_co_u32_e32 v11, vcc, s21, v10
	v_addc_co_u32_e64 v14, s[2:3], 0, 0, vcc
	v_add_co_u32_e32 v10, vcc, s16, v11
	v_addc_co_u32_e32 v9, vcc, v13, v14, vcc
	v_add_co_u32_e32 v12, vcc, s8, v11
	s_lshl_b32 s5, s4, 1
	v_addc_co_u32_e32 v11, vcc, v15, v14, vcc
	v_add_co_u32_e32 v22, vcc, s5, v0
	v_addc_co_u32_e64 v23, s[2:3], 0, 0, vcc
	v_add_co_u32_e32 v24, vcc, s4, v0
	v_lshlrev_b32_e32 v16, 1, v24
	v_addc_co_u32_e64 v25, s[2:3], 0, 0, vcc
	v_add_co_u32_e32 v14, vcc, s16, v16
	v_addc_co_u32_e32 v13, vcc, 0, v13, vcc
	v_add_co_u32_e32 v16, vcc, s8, v16
	s_mov_b32 s20, 0
	v_cmp_lt_f32_e64 s[0:1], |s22|, 0.5
	v_sub_f32_e64 v17, 1.0, s22
	s_lshl_b32 s23, s4, 3
	v_addc_co_u32_e32 v15, vcc, 0, v15, vcc
	s_mov_b64 s[16:17], 0
	s_movk_i32 s24, 0x7fff
	v_mov_b32_e32 v26, 0x7fc0
	s_branch .LBB35_9
.LBB35_8:                               ;   in Loop: Header=BB35_9 Depth=1
	s_or_b64 exec, exec, s[2:3]
	s_add_u32 s16, s16, s21
	s_addc_u32 s17, s17, 0
	v_pk_mov_b32 v[18:19], s[12:13], s[12:13] op_sel:[0,1]
	v_cmp_ge_i64_e32 vcc, s[16:17], v[18:19]
	v_mov_b32_e32 v18, 0xffff
	v_mov_b32_e32 v19, 0
	v_cmp_gt_u64_e64 s[2:3], s[16:17], v[18:19]
	s_or_b64 s[2:3], vcc, s[2:3]
	v_mov_b32_e32 v18, s20
	v_add_co_u32_e32 v2, vcc, s23, v2
	v_addc_co_u32_e32 v1, vcc, v1, v18, vcc
	v_add_co_u32_e32 v4, vcc, s23, v4
	v_addc_co_u32_e32 v3, vcc, v3, v18, vcc
	;; [unrolled: 2-line block ×8, first 2 shown]
	s_and_b64 vcc, exec, s[2:3]
	s_cbranch_vccnz .LBB35_25
.LBB35_9:                               ; =>This Inner Loop Header: Depth=1
	v_mov_b32_e32 v19, s17
	v_add_co_u32_e32 v18, vcc, s16, v0
	v_addc_co_u32_e32 v19, vcc, 0, v19, vcc
	v_cmp_gt_u64_e32 vcc, s[14:15], v[18:19]
	v_pk_mov_b32 v[18:19], 0, 0
	s_waitcnt vmcnt(0)
	v_mov_b32_e32 v28, 0
	s_and_saveexec_b64 s[4:5], vcc
	s_cbranch_execz .LBB35_11
; %bb.10:                               ;   in Loop: Header=BB35_9 Depth=1
	v_mov_b32_e32 v27, s11
	v_add_co_u32_e64 v18, s[2:3], s10, v2
	v_addc_co_u32_e64 v19, s[2:3], v1, v27, s[2:3]
	global_load_ushort v29, v[18:19], off
	v_add_co_u32_e64 v18, s[2:3], s10, v4
	v_addc_co_u32_e64 v19, s[2:3], v3, v27, s[2:3]
	global_load_ushort v28, v[18:19], off
	v_mov_b32_e32 v19, s20
	s_waitcnt vmcnt(1)
	v_and_b32_e32 v18, 0xffff, v29
.LBB35_11:                              ;   in Loop: Header=BB35_9 Depth=1
	s_or_b64 exec, exec, s[4:5]
	v_mov_b32_e32 v27, s17
	v_add_co_u32_e64 v30, s[2:3], s16, v24
	v_addc_co_u32_e64 v31, s[2:3], v25, v27, s[2:3]
	v_cmp_gt_u64_e64 s[2:3], s[14:15], v[30:31]
	v_mov_b32_e32 v27, 0
	v_mov_b32_e32 v29, 0
	s_and_saveexec_b64 s[6:7], s[2:3]
	s_cbranch_execz .LBB35_13
; %bb.12:                               ;   in Loop: Header=BB35_9 Depth=1
	v_mov_b32_e32 v29, s11
	v_add_co_u32_e64 v30, s[4:5], s10, v14
	v_addc_co_u32_e64 v31, s[4:5], v13, v29, s[4:5]
	global_load_ushort v32, v[30:31], off
	v_add_co_u32_e64 v30, s[4:5], s10, v16
	v_addc_co_u32_e64 v31, s[4:5], v15, v29, s[4:5]
	global_load_ushort v29, v[30:31], off
	s_waitcnt vmcnt(1)
	v_lshl_or_b32 v18, v32, 16, v18
.LBB35_13:                              ;   in Loop: Header=BB35_9 Depth=1
	s_or_b64 exec, exec, s[6:7]
	v_mov_b32_e32 v31, s17
	v_add_co_u32_e64 v30, s[4:5], s16, v22
	v_addc_co_u32_e64 v31, s[4:5], v23, v31, s[4:5]
	v_cmp_gt_u64_e64 s[4:5], s[14:15], v[30:31]
	s_and_saveexec_b64 s[8:9], s[4:5]
	s_cbranch_execz .LBB35_15
; %bb.14:                               ;   in Loop: Header=BB35_9 Depth=1
	v_mov_b32_e32 v27, s11
	v_add_co_u32_e64 v30, s[6:7], s10, v10
	v_addc_co_u32_e64 v31, s[6:7], v9, v27, s[6:7]
	global_load_ushort v32, v[30:31], off
	v_add_co_u32_e64 v30, s[6:7], s10, v12
	v_addc_co_u32_e64 v31, s[6:7], v11, v27, s[6:7]
	global_load_ushort v27, v[30:31], off
	s_waitcnt vmcnt(1)
	v_or_b32_e32 v19, v32, v19
.LBB35_15:                              ;   in Loop: Header=BB35_9 Depth=1
	s_or_b64 exec, exec, s[8:9]
	v_mov_b32_e32 v31, s17
	v_add_co_u32_e64 v30, s[6:7], s16, v20
	v_addc_co_u32_e64 v31, s[6:7], v21, v31, s[6:7]
	v_cmp_gt_u64_e64 s[6:7], s[14:15], v[30:31]
	v_mov_b32_e32 v30, 0
	s_and_saveexec_b64 s[18:19], s[6:7]
	s_cbranch_execnz .LBB35_20
; %bb.16:                               ;   in Loop: Header=BB35_9 Depth=1
	s_or_b64 exec, exec, s[18:19]
	s_and_saveexec_b64 s[8:9], vcc
	s_cbranch_execnz .LBB35_21
.LBB35_17:                              ;   in Loop: Header=BB35_9 Depth=1
	s_or_b64 exec, exec, s[8:9]
	s_and_saveexec_b64 s[8:9], s[2:3]
	s_cbranch_execnz .LBB35_22
.LBB35_18:                              ;   in Loop: Header=BB35_9 Depth=1
	s_or_b64 exec, exec, s[8:9]
	s_and_saveexec_b64 s[2:3], s[4:5]
	s_cbranch_execnz .LBB35_23
.LBB35_19:                              ;   in Loop: Header=BB35_9 Depth=1
	s_or_b64 exec, exec, s[2:3]
	s_and_saveexec_b64 s[2:3], s[6:7]
	s_cbranch_execz .LBB35_8
	s_branch .LBB35_24
.LBB35_20:                              ;   in Loop: Header=BB35_9 Depth=1
	v_mov_b32_e32 v32, s11
	v_add_co_u32_e64 v30, s[8:9], s10, v6
	v_addc_co_u32_e64 v31, s[8:9], v5, v32, s[8:9]
	global_load_ushort v33, v[30:31], off
	v_add_co_u32_e64 v30, s[8:9], s10, v8
	v_addc_co_u32_e64 v31, s[8:9], v7, v32, s[8:9]
	global_load_ushort v30, v[30:31], off
	s_waitcnt vmcnt(1)
	v_lshlrev_b32_e32 v31, 16, v33
	v_or_b32_e32 v19, v31, v19
	s_or_b64 exec, exec, s[18:19]
	s_and_saveexec_b64 s[8:9], vcc
	s_cbranch_execz .LBB35_17
.LBB35_21:                              ;   in Loop: Header=BB35_9 Depth=1
	v_lshlrev_b32_e32 v31, 16, v18
	s_waitcnt vmcnt(0)
	v_lshlrev_b32_e32 v28, 16, v28
	v_sub_f32_e32 v32, v28, v31
	v_fmac_f32_e32 v31, s22, v32
	v_fma_f32 v28, -v17, v32, v28
	v_cndmask_b32_e64 v28, v28, v31, s[0:1]
	v_bfe_u32 v31, v28, 16, 1
	v_mov_b32_e32 v33, s11
	v_add_co_u32_e32 v32, vcc, s10, v2
	v_add3_u32 v31, v28, v31, s24
	v_addc_co_u32_e32 v33, vcc, v1, v33, vcc
	v_lshrrev_b32_e32 v31, 16, v31
	v_cmp_o_f32_e32 vcc, v28, v28
	v_cndmask_b32_e32 v28, v26, v31, vcc
	global_store_short v[32:33], v28, off
	s_or_b64 exec, exec, s[8:9]
	s_and_saveexec_b64 s[8:9], s[2:3]
	s_cbranch_execz .LBB35_18
.LBB35_22:                              ;   in Loop: Header=BB35_9 Depth=1
	s_waitcnt vmcnt(0)
	v_and_b32_e32 v28, 0xffff0000, v18
	v_lshlrev_b32_e32 v29, 16, v29
	v_sub_f32_e32 v31, v29, v28
	v_fmac_f32_e32 v28, s22, v31
	v_fma_f32 v29, -v17, v31, v29
	v_cndmask_b32_e64 v28, v29, v28, s[0:1]
	v_bfe_u32 v29, v28, 16, 1
	v_add3_u32 v29, v28, v29, s24
	v_lshrrev_b32_e32 v29, 16, v29
	v_cmp_o_f32_e32 vcc, v28, v28
	v_cndmask_b32_e32 v31, v26, v29, vcc
	v_mov_b32_e32 v29, s11
	v_add_co_u32_e32 v28, vcc, s10, v14
	v_addc_co_u32_e32 v29, vcc, v13, v29, vcc
	global_store_short v[28:29], v31, off
	s_or_b64 exec, exec, s[8:9]
	s_and_saveexec_b64 s[2:3], s[4:5]
	s_cbranch_execz .LBB35_19
.LBB35_23:                              ;   in Loop: Header=BB35_9 Depth=1
	v_alignbit_b32 v18, v19, v18, 16
	v_and_b32_e32 v18, 0xffff0000, v18
	s_waitcnt vmcnt(0)
	v_lshlrev_b32_e32 v27, 16, v27
	v_sub_f32_e32 v28, v27, v18
	v_fmac_f32_e32 v18, s22, v28
	v_fma_f32 v27, -v17, v28, v27
	v_cndmask_b32_e64 v18, v27, v18, s[0:1]
	v_bfe_u32 v27, v18, 16, 1
	v_add3_u32 v27, v18, v27, s24
	v_lshrrev_b32_e32 v27, 16, v27
	v_cmp_o_f32_e32 vcc, v18, v18
	v_cndmask_b32_e32 v18, v26, v27, vcc
	v_mov_b32_e32 v27, s11
	v_add_co_u32_e32 v28, vcc, s10, v10
	v_addc_co_u32_e32 v29, vcc, v9, v27, vcc
	global_store_short v[28:29], v18, off
	s_or_b64 exec, exec, s[2:3]
	s_and_saveexec_b64 s[2:3], s[6:7]
	s_cbranch_execz .LBB35_8
.LBB35_24:                              ;   in Loop: Header=BB35_9 Depth=1
	v_and_b32_e32 v18, 0xffff0000, v19
	s_waitcnt vmcnt(0)
	v_lshlrev_b32_e32 v19, 16, v30
	v_sub_f32_e32 v27, v19, v18
	v_fmac_f32_e32 v18, s22, v27
	v_fma_f32 v19, -v17, v27, v19
	v_cndmask_b32_e64 v18, v19, v18, s[0:1]
	v_bfe_u32 v19, v18, 16, 1
	v_add3_u32 v19, v18, v19, s24
	v_lshrrev_b32_e32 v19, 16, v19
	v_cmp_o_f32_e32 vcc, v18, v18
	v_cndmask_b32_e32 v27, v26, v19, vcc
	v_mov_b32_e32 v19, s11
	v_add_co_u32_e32 v18, vcc, s10, v6
	v_addc_co_u32_e32 v19, vcc, v5, v19, vcc
	global_store_short v[18:19], v27, off
	s_branch .LBB35_8
.LBB35_25:
	s_endpgm
	.section	.rodata,"a",@progbits
	.p2align	6, 0x0
	.amdhsa_kernel _ZN2at6native12_GLOBAL__N_125multi_tensor_apply_kernelINS1_28TensorListScalarListMetadataIfLi2EEENS1_26TernaryOpScalarListFunctorIN3c108BFloat16ELi2ELi2ELi0EEEJNS0_11LerpFunctorIfEEEEEvT_T0_DpT1_
		.amdhsa_group_segment_fixed_size 0
		.amdhsa_private_segment_fixed_size 0
		.amdhsa_kernarg_size 3656
		.amdhsa_user_sgpr_count 6
		.amdhsa_user_sgpr_private_segment_buffer 1
		.amdhsa_user_sgpr_dispatch_ptr 0
		.amdhsa_user_sgpr_queue_ptr 0
		.amdhsa_user_sgpr_kernarg_segment_ptr 1
		.amdhsa_user_sgpr_dispatch_id 0
		.amdhsa_user_sgpr_flat_scratch_init 0
		.amdhsa_user_sgpr_kernarg_preload_length 0
		.amdhsa_user_sgpr_kernarg_preload_offset 0
		.amdhsa_user_sgpr_private_segment_size 0
		.amdhsa_uses_dynamic_stack 0
		.amdhsa_system_sgpr_private_segment_wavefront_offset 0
		.amdhsa_system_sgpr_workgroup_id_x 1
		.amdhsa_system_sgpr_workgroup_id_y 0
		.amdhsa_system_sgpr_workgroup_id_z 0
		.amdhsa_system_sgpr_workgroup_info 0
		.amdhsa_system_vgpr_workitem_id 0
		.amdhsa_next_free_vgpr 34
		.amdhsa_next_free_sgpr 26
		.amdhsa_accum_offset 36
		.amdhsa_reserve_vcc 1
		.amdhsa_reserve_flat_scratch 0
		.amdhsa_float_round_mode_32 0
		.amdhsa_float_round_mode_16_64 0
		.amdhsa_float_denorm_mode_32 3
		.amdhsa_float_denorm_mode_16_64 3
		.amdhsa_dx10_clamp 1
		.amdhsa_ieee_mode 1
		.amdhsa_fp16_overflow 0
		.amdhsa_tg_split 0
		.amdhsa_exception_fp_ieee_invalid_op 0
		.amdhsa_exception_fp_denorm_src 0
		.amdhsa_exception_fp_ieee_div_zero 0
		.amdhsa_exception_fp_ieee_overflow 0
		.amdhsa_exception_fp_ieee_underflow 0
		.amdhsa_exception_fp_ieee_inexact 0
		.amdhsa_exception_int_div_zero 0
	.end_amdhsa_kernel
	.section	.text._ZN2at6native12_GLOBAL__N_125multi_tensor_apply_kernelINS1_28TensorListScalarListMetadataIfLi2EEENS1_26TernaryOpScalarListFunctorIN3c108BFloat16ELi2ELi2ELi0EEEJNS0_11LerpFunctorIfEEEEEvT_T0_DpT1_,"axG",@progbits,_ZN2at6native12_GLOBAL__N_125multi_tensor_apply_kernelINS1_28TensorListScalarListMetadataIfLi2EEENS1_26TernaryOpScalarListFunctorIN3c108BFloat16ELi2ELi2ELi0EEEJNS0_11LerpFunctorIfEEEEEvT_T0_DpT1_,comdat
.Lfunc_end35:
	.size	_ZN2at6native12_GLOBAL__N_125multi_tensor_apply_kernelINS1_28TensorListScalarListMetadataIfLi2EEENS1_26TernaryOpScalarListFunctorIN3c108BFloat16ELi2ELi2ELi0EEEJNS0_11LerpFunctorIfEEEEEvT_T0_DpT1_, .Lfunc_end35-_ZN2at6native12_GLOBAL__N_125multi_tensor_apply_kernelINS1_28TensorListScalarListMetadataIfLi2EEENS1_26TernaryOpScalarListFunctorIN3c108BFloat16ELi2ELi2ELi0EEEJNS0_11LerpFunctorIfEEEEEvT_T0_DpT1_
                                        ; -- End function
	.section	.AMDGPU.csdata,"",@progbits
; Kernel info:
; codeLenInByte = 2080
; NumSgprs: 30
; NumVgprs: 34
; NumAgprs: 0
; TotalNumVgprs: 34
; ScratchSize: 0
; MemoryBound: 0
; FloatMode: 240
; IeeeMode: 1
; LDSByteSize: 0 bytes/workgroup (compile time only)
; SGPRBlocks: 3
; VGPRBlocks: 4
; NumSGPRsForWavesPerEU: 30
; NumVGPRsForWavesPerEU: 34
; AccumOffset: 36
; Occupancy: 8
; WaveLimiterHint : 0
; COMPUTE_PGM_RSRC2:SCRATCH_EN: 0
; COMPUTE_PGM_RSRC2:USER_SGPR: 6
; COMPUTE_PGM_RSRC2:TRAP_HANDLER: 0
; COMPUTE_PGM_RSRC2:TGID_X_EN: 1
; COMPUTE_PGM_RSRC2:TGID_Y_EN: 0
; COMPUTE_PGM_RSRC2:TGID_Z_EN: 0
; COMPUTE_PGM_RSRC2:TIDIG_COMP_CNT: 0
; COMPUTE_PGM_RSRC3_GFX90A:ACCUM_OFFSET: 8
; COMPUTE_PGM_RSRC3_GFX90A:TG_SPLIT: 0
	.text
	.p2alignl 6, 3212836864
	.fill 256, 4, 3212836864
	.type	__hip_cuid_ad071ede49a31269,@object ; @__hip_cuid_ad071ede49a31269
	.section	.bss,"aw",@nobits
	.globl	__hip_cuid_ad071ede49a31269
__hip_cuid_ad071ede49a31269:
	.byte	0                               ; 0x0
	.size	__hip_cuid_ad071ede49a31269, 1

	.ident	"AMD clang version 19.0.0git (https://github.com/RadeonOpenCompute/llvm-project roc-6.4.0 25133 c7fe45cf4b819c5991fe208aaa96edf142730f1d)"
	.section	".note.GNU-stack","",@progbits
	.addrsig
	.addrsig_sym __hip_cuid_ad071ede49a31269
	.amdgpu_metadata
---
amdhsa.kernels:
  - .agpr_count:     0
    .args:
      - .offset:         0
        .size:           3048
        .value_kind:     by_value
      - .offset:         3048
        .size:           1
        .value_kind:     by_value
      - .offset:         3049
        .size:           1
        .value_kind:     by_value
      - .offset:         3056
        .size:           4
        .value_kind:     hidden_block_count_x
      - .offset:         3060
        .size:           4
        .value_kind:     hidden_block_count_y
      - .offset:         3064
        .size:           4
        .value_kind:     hidden_block_count_z
      - .offset:         3068
        .size:           2
        .value_kind:     hidden_group_size_x
      - .offset:         3070
        .size:           2
        .value_kind:     hidden_group_size_y
      - .offset:         3072
        .size:           2
        .value_kind:     hidden_group_size_z
      - .offset:         3074
        .size:           2
        .value_kind:     hidden_remainder_x
      - .offset:         3076
        .size:           2
        .value_kind:     hidden_remainder_y
      - .offset:         3078
        .size:           2
        .value_kind:     hidden_remainder_z
      - .offset:         3096
        .size:           8
        .value_kind:     hidden_global_offset_x
      - .offset:         3104
        .size:           8
        .value_kind:     hidden_global_offset_y
      - .offset:         3112
        .size:           8
        .value_kind:     hidden_global_offset_z
      - .offset:         3120
        .size:           2
        .value_kind:     hidden_grid_dims
    .group_segment_fixed_size: 0
    .kernarg_segment_align: 8
    .kernarg_segment_size: 3312
    .language:       OpenCL C
    .language_version:
      - 2
      - 0
    .max_flat_workgroup_size: 512
    .name:           _ZN2at6native12_GLOBAL__N_125multi_tensor_apply_kernelINS1_18TensorListMetadataILi4EEENS1_20TernaryOpListFunctorIdLi4ELi3ELi3EEEJNS0_11LerpFunctorIdEEEEEvT_T0_DpT1_
    .private_segment_fixed_size: 0
    .sgpr_count:     41
    .sgpr_spill_count: 0
    .symbol:         _ZN2at6native12_GLOBAL__N_125multi_tensor_apply_kernelINS1_18TensorListMetadataILi4EEENS1_20TernaryOpListFunctorIdLi4ELi3ELi3EEEJNS0_11LerpFunctorIdEEEEEvT_T0_DpT1_.kd
    .uniform_work_group_size: 1
    .uses_dynamic_stack: false
    .vgpr_count:     70
    .vgpr_spill_count: 0
    .wavefront_size: 64
  - .agpr_count:     0
    .args:
      - .offset:         0
        .size:           3048
        .value_kind:     by_value
      - .offset:         3048
        .size:           1
        .value_kind:     by_value
      - .offset:         3049
        .size:           1
        .value_kind:     by_value
      - .offset:         3056
        .size:           4
        .value_kind:     hidden_block_count_x
      - .offset:         3060
        .size:           4
        .value_kind:     hidden_block_count_y
      - .offset:         3064
        .size:           4
        .value_kind:     hidden_block_count_z
      - .offset:         3068
        .size:           2
        .value_kind:     hidden_group_size_x
      - .offset:         3070
        .size:           2
        .value_kind:     hidden_group_size_y
      - .offset:         3072
        .size:           2
        .value_kind:     hidden_group_size_z
      - .offset:         3074
        .size:           2
        .value_kind:     hidden_remainder_x
      - .offset:         3076
        .size:           2
        .value_kind:     hidden_remainder_y
      - .offset:         3078
        .size:           2
        .value_kind:     hidden_remainder_z
      - .offset:         3096
        .size:           8
        .value_kind:     hidden_global_offset_x
      - .offset:         3104
        .size:           8
        .value_kind:     hidden_global_offset_y
      - .offset:         3112
        .size:           8
        .value_kind:     hidden_global_offset_z
      - .offset:         3120
        .size:           2
        .value_kind:     hidden_grid_dims
    .group_segment_fixed_size: 0
    .kernarg_segment_align: 8
    .kernarg_segment_size: 3312
    .language:       OpenCL C
    .language_version:
      - 2
      - 0
    .max_flat_workgroup_size: 512
    .name:           _ZN2at6native12_GLOBAL__N_125multi_tensor_apply_kernelINS1_18TensorListMetadataILi4EEENS1_20TernaryOpListFunctorIfLi4ELi3ELi3EEEJNS0_11LerpFunctorIfEEEEEvT_T0_DpT1_
    .private_segment_fixed_size: 0
    .sgpr_count:     35
    .sgpr_spill_count: 0
    .symbol:         _ZN2at6native12_GLOBAL__N_125multi_tensor_apply_kernelINS1_18TensorListMetadataILi4EEENS1_20TernaryOpListFunctorIfLi4ELi3ELi3EEEJNS0_11LerpFunctorIfEEEEEvT_T0_DpT1_.kd
    .uniform_work_group_size: 1
    .uses_dynamic_stack: false
    .vgpr_count:     56
    .vgpr_spill_count: 0
    .wavefront_size: 64
  - .agpr_count:     0
    .args:
      - .offset:         0
        .size:           3048
        .value_kind:     by_value
      - .offset:         3048
        .size:           1
        .value_kind:     by_value
      - .offset:         3049
        .size:           1
        .value_kind:     by_value
      - .offset:         3056
        .size:           4
        .value_kind:     hidden_block_count_x
      - .offset:         3060
        .size:           4
        .value_kind:     hidden_block_count_y
      - .offset:         3064
        .size:           4
        .value_kind:     hidden_block_count_z
      - .offset:         3068
        .size:           2
        .value_kind:     hidden_group_size_x
      - .offset:         3070
        .size:           2
        .value_kind:     hidden_group_size_y
      - .offset:         3072
        .size:           2
        .value_kind:     hidden_group_size_z
      - .offset:         3074
        .size:           2
        .value_kind:     hidden_remainder_x
      - .offset:         3076
        .size:           2
        .value_kind:     hidden_remainder_y
      - .offset:         3078
        .size:           2
        .value_kind:     hidden_remainder_z
      - .offset:         3096
        .size:           8
        .value_kind:     hidden_global_offset_x
      - .offset:         3104
        .size:           8
        .value_kind:     hidden_global_offset_y
      - .offset:         3112
        .size:           8
        .value_kind:     hidden_global_offset_z
      - .offset:         3120
        .size:           2
        .value_kind:     hidden_grid_dims
    .group_segment_fixed_size: 0
    .kernarg_segment_align: 8
    .kernarg_segment_size: 3312
    .language:       OpenCL C
    .language_version:
      - 2
      - 0
    .max_flat_workgroup_size: 512
    .name:           _ZN2at6native12_GLOBAL__N_125multi_tensor_apply_kernelINS1_18TensorListMetadataILi4EEENS1_20TernaryOpListFunctorIN3c107complexIdEELi4ELi3ELi3EEEJNS0_11LerpFunctorIS8_EEEEEvT_T0_DpT1_
    .private_segment_fixed_size: 0
    .sgpr_count:     40
    .sgpr_spill_count: 0
    .symbol:         _ZN2at6native12_GLOBAL__N_125multi_tensor_apply_kernelINS1_18TensorListMetadataILi4EEENS1_20TernaryOpListFunctorIN3c107complexIdEELi4ELi3ELi3EEEJNS0_11LerpFunctorIS8_EEEEEvT_T0_DpT1_.kd
    .uniform_work_group_size: 1
    .uses_dynamic_stack: false
    .vgpr_count:     90
    .vgpr_spill_count: 0
    .wavefront_size: 64
  - .agpr_count:     0
    .args:
      - .offset:         0
        .size:           3048
        .value_kind:     by_value
      - .offset:         3048
        .size:           1
        .value_kind:     by_value
      - .offset:         3049
        .size:           1
        .value_kind:     by_value
      - .offset:         3056
        .size:           4
        .value_kind:     hidden_block_count_x
      - .offset:         3060
        .size:           4
        .value_kind:     hidden_block_count_y
      - .offset:         3064
        .size:           4
        .value_kind:     hidden_block_count_z
      - .offset:         3068
        .size:           2
        .value_kind:     hidden_group_size_x
      - .offset:         3070
        .size:           2
        .value_kind:     hidden_group_size_y
      - .offset:         3072
        .size:           2
        .value_kind:     hidden_group_size_z
      - .offset:         3074
        .size:           2
        .value_kind:     hidden_remainder_x
      - .offset:         3076
        .size:           2
        .value_kind:     hidden_remainder_y
      - .offset:         3078
        .size:           2
        .value_kind:     hidden_remainder_z
      - .offset:         3096
        .size:           8
        .value_kind:     hidden_global_offset_x
      - .offset:         3104
        .size:           8
        .value_kind:     hidden_global_offset_y
      - .offset:         3112
        .size:           8
        .value_kind:     hidden_global_offset_z
      - .offset:         3120
        .size:           2
        .value_kind:     hidden_grid_dims
    .group_segment_fixed_size: 0
    .kernarg_segment_align: 8
    .kernarg_segment_size: 3312
    .language:       OpenCL C
    .language_version:
      - 2
      - 0
    .max_flat_workgroup_size: 512
    .name:           _ZN2at6native12_GLOBAL__N_125multi_tensor_apply_kernelINS1_18TensorListMetadataILi4EEENS1_20TernaryOpListFunctorIN3c107complexIfEELi4ELi3ELi3EEEJNS0_11LerpFunctorIS8_EEEEEvT_T0_DpT1_
    .private_segment_fixed_size: 0
    .sgpr_count:     39
    .sgpr_spill_count: 0
    .symbol:         _ZN2at6native12_GLOBAL__N_125multi_tensor_apply_kernelINS1_18TensorListMetadataILi4EEENS1_20TernaryOpListFunctorIN3c107complexIfEELi4ELi3ELi3EEEJNS0_11LerpFunctorIS8_EEEEEvT_T0_DpT1_.kd
    .uniform_work_group_size: 1
    .uses_dynamic_stack: false
    .vgpr_count:     67
    .vgpr_spill_count: 0
    .wavefront_size: 64
  - .agpr_count:     0
    .args:
      - .offset:         0
        .size:           3048
        .value_kind:     by_value
      - .offset:         3048
        .size:           1
        .value_kind:     by_value
      - .offset:         3049
        .size:           1
        .value_kind:     by_value
      - .offset:         3056
        .size:           4
        .value_kind:     hidden_block_count_x
      - .offset:         3060
        .size:           4
        .value_kind:     hidden_block_count_y
      - .offset:         3064
        .size:           4
        .value_kind:     hidden_block_count_z
      - .offset:         3068
        .size:           2
        .value_kind:     hidden_group_size_x
      - .offset:         3070
        .size:           2
        .value_kind:     hidden_group_size_y
      - .offset:         3072
        .size:           2
        .value_kind:     hidden_group_size_z
      - .offset:         3074
        .size:           2
        .value_kind:     hidden_remainder_x
      - .offset:         3076
        .size:           2
        .value_kind:     hidden_remainder_y
      - .offset:         3078
        .size:           2
        .value_kind:     hidden_remainder_z
      - .offset:         3096
        .size:           8
        .value_kind:     hidden_global_offset_x
      - .offset:         3104
        .size:           8
        .value_kind:     hidden_global_offset_y
      - .offset:         3112
        .size:           8
        .value_kind:     hidden_global_offset_z
      - .offset:         3120
        .size:           2
        .value_kind:     hidden_grid_dims
    .group_segment_fixed_size: 0
    .kernarg_segment_align: 8
    .kernarg_segment_size: 3312
    .language:       OpenCL C
    .language_version:
      - 2
      - 0
    .max_flat_workgroup_size: 512
    .name:           _ZN2at6native12_GLOBAL__N_125multi_tensor_apply_kernelINS1_18TensorListMetadataILi4EEENS1_20TernaryOpListFunctorIN3c104HalfELi4ELi3ELi3EEEJNS0_11LerpFunctorIfEEEEEvT_T0_DpT1_
    .private_segment_fixed_size: 0
    .sgpr_count:     34
    .sgpr_spill_count: 0
    .symbol:         _ZN2at6native12_GLOBAL__N_125multi_tensor_apply_kernelINS1_18TensorListMetadataILi4EEENS1_20TernaryOpListFunctorIN3c104HalfELi4ELi3ELi3EEEJNS0_11LerpFunctorIfEEEEEvT_T0_DpT1_.kd
    .uniform_work_group_size: 1
    .uses_dynamic_stack: false
    .vgpr_count:     54
    .vgpr_spill_count: 0
    .wavefront_size: 64
  - .agpr_count:     0
    .args:
      - .offset:         0
        .size:           3048
        .value_kind:     by_value
      - .offset:         3048
        .size:           1
        .value_kind:     by_value
      - .offset:         3049
        .size:           1
        .value_kind:     by_value
      - .offset:         3056
        .size:           4
        .value_kind:     hidden_block_count_x
      - .offset:         3060
        .size:           4
        .value_kind:     hidden_block_count_y
      - .offset:         3064
        .size:           4
        .value_kind:     hidden_block_count_z
      - .offset:         3068
        .size:           2
        .value_kind:     hidden_group_size_x
      - .offset:         3070
        .size:           2
        .value_kind:     hidden_group_size_y
      - .offset:         3072
        .size:           2
        .value_kind:     hidden_group_size_z
      - .offset:         3074
        .size:           2
        .value_kind:     hidden_remainder_x
      - .offset:         3076
        .size:           2
        .value_kind:     hidden_remainder_y
      - .offset:         3078
        .size:           2
        .value_kind:     hidden_remainder_z
      - .offset:         3096
        .size:           8
        .value_kind:     hidden_global_offset_x
      - .offset:         3104
        .size:           8
        .value_kind:     hidden_global_offset_y
      - .offset:         3112
        .size:           8
        .value_kind:     hidden_global_offset_z
      - .offset:         3120
        .size:           2
        .value_kind:     hidden_grid_dims
    .group_segment_fixed_size: 0
    .kernarg_segment_align: 8
    .kernarg_segment_size: 3312
    .language:       OpenCL C
    .language_version:
      - 2
      - 0
    .max_flat_workgroup_size: 512
    .name:           _ZN2at6native12_GLOBAL__N_125multi_tensor_apply_kernelINS1_18TensorListMetadataILi4EEENS1_20TernaryOpListFunctorIN3c108BFloat16ELi4ELi3ELi3EEEJNS0_11LerpFunctorIfEEEEEvT_T0_DpT1_
    .private_segment_fixed_size: 0
    .sgpr_count:     31
    .sgpr_spill_count: 0
    .symbol:         _ZN2at6native12_GLOBAL__N_125multi_tensor_apply_kernelINS1_18TensorListMetadataILi4EEENS1_20TernaryOpListFunctorIN3c108BFloat16ELi4ELi3ELi3EEEJNS0_11LerpFunctorIfEEEEEvT_T0_DpT1_.kd
    .uniform_work_group_size: 1
    .uses_dynamic_stack: false
    .vgpr_count:     54
    .vgpr_spill_count: 0
    .wavefront_size: 64
  - .agpr_count:     0
    .args:
      - .offset:         0
        .size:           3144
        .value_kind:     by_value
      - .offset:         3144
        .size:           1
        .value_kind:     by_value
      - .offset:         3145
        .size:           1
        .value_kind:     by_value
      - .offset:         3152
        .size:           4
        .value_kind:     hidden_block_count_x
      - .offset:         3156
        .size:           4
        .value_kind:     hidden_block_count_y
      - .offset:         3160
        .size:           4
        .value_kind:     hidden_block_count_z
      - .offset:         3164
        .size:           2
        .value_kind:     hidden_group_size_x
      - .offset:         3166
        .size:           2
        .value_kind:     hidden_group_size_y
      - .offset:         3168
        .size:           2
        .value_kind:     hidden_group_size_z
      - .offset:         3170
        .size:           2
        .value_kind:     hidden_remainder_x
      - .offset:         3172
        .size:           2
        .value_kind:     hidden_remainder_y
      - .offset:         3174
        .size:           2
        .value_kind:     hidden_remainder_z
      - .offset:         3192
        .size:           8
        .value_kind:     hidden_global_offset_x
      - .offset:         3200
        .size:           8
        .value_kind:     hidden_global_offset_y
      - .offset:         3208
        .size:           8
        .value_kind:     hidden_global_offset_z
      - .offset:         3216
        .size:           2
        .value_kind:     hidden_grid_dims
    .group_segment_fixed_size: 0
    .kernarg_segment_align: 8
    .kernarg_segment_size: 3408
    .language:       OpenCL C
    .language_version:
      - 2
      - 0
    .max_flat_workgroup_size: 512
    .name:           _ZN2at6native12_GLOBAL__N_125multi_tensor_apply_kernelINS1_18TensorListMetadataILi3EEENS1_20TernaryOpListFunctorIdLi3ELi3ELi0EEEJNS0_11LerpFunctorIdEEEEEvT_T0_DpT1_
    .private_segment_fixed_size: 0
    .sgpr_count:     36
    .sgpr_spill_count: 0
    .symbol:         _ZN2at6native12_GLOBAL__N_125multi_tensor_apply_kernelINS1_18TensorListMetadataILi3EEENS1_20TernaryOpListFunctorIdLi3ELi3ELi0EEEJNS0_11LerpFunctorIdEEEEEvT_T0_DpT1_.kd
    .uniform_work_group_size: 1
    .uses_dynamic_stack: false
    .vgpr_count:     62
    .vgpr_spill_count: 0
    .wavefront_size: 64
  - .agpr_count:     0
    .args:
      - .offset:         0
        .size:           3144
        .value_kind:     by_value
      - .offset:         3144
        .size:           1
        .value_kind:     by_value
      - .offset:         3145
        .size:           1
        .value_kind:     by_value
      - .offset:         3152
        .size:           4
        .value_kind:     hidden_block_count_x
      - .offset:         3156
        .size:           4
        .value_kind:     hidden_block_count_y
      - .offset:         3160
        .size:           4
        .value_kind:     hidden_block_count_z
      - .offset:         3164
        .size:           2
        .value_kind:     hidden_group_size_x
      - .offset:         3166
        .size:           2
        .value_kind:     hidden_group_size_y
      - .offset:         3168
        .size:           2
        .value_kind:     hidden_group_size_z
      - .offset:         3170
        .size:           2
        .value_kind:     hidden_remainder_x
      - .offset:         3172
        .size:           2
        .value_kind:     hidden_remainder_y
      - .offset:         3174
        .size:           2
        .value_kind:     hidden_remainder_z
      - .offset:         3192
        .size:           8
        .value_kind:     hidden_global_offset_x
      - .offset:         3200
        .size:           8
        .value_kind:     hidden_global_offset_y
      - .offset:         3208
        .size:           8
        .value_kind:     hidden_global_offset_z
      - .offset:         3216
        .size:           2
        .value_kind:     hidden_grid_dims
    .group_segment_fixed_size: 0
    .kernarg_segment_align: 8
    .kernarg_segment_size: 3408
    .language:       OpenCL C
    .language_version:
      - 2
      - 0
    .max_flat_workgroup_size: 512
    .name:           _ZN2at6native12_GLOBAL__N_125multi_tensor_apply_kernelINS1_18TensorListMetadataILi3EEENS1_20TernaryOpListFunctorIfLi3ELi3ELi0EEEJNS0_11LerpFunctorIfEEEEEvT_T0_DpT1_
    .private_segment_fixed_size: 0
    .sgpr_count:     32
    .sgpr_spill_count: 0
    .symbol:         _ZN2at6native12_GLOBAL__N_125multi_tensor_apply_kernelINS1_18TensorListMetadataILi3EEENS1_20TernaryOpListFunctorIfLi3ELi3ELi0EEEJNS0_11LerpFunctorIfEEEEEvT_T0_DpT1_.kd
    .uniform_work_group_size: 1
    .uses_dynamic_stack: false
    .vgpr_count:     48
    .vgpr_spill_count: 0
    .wavefront_size: 64
  - .agpr_count:     0
    .args:
      - .offset:         0
        .size:           3144
        .value_kind:     by_value
      - .offset:         3144
        .size:           1
        .value_kind:     by_value
      - .offset:         3145
        .size:           1
        .value_kind:     by_value
      - .offset:         3152
        .size:           4
        .value_kind:     hidden_block_count_x
      - .offset:         3156
        .size:           4
        .value_kind:     hidden_block_count_y
      - .offset:         3160
        .size:           4
        .value_kind:     hidden_block_count_z
      - .offset:         3164
        .size:           2
        .value_kind:     hidden_group_size_x
      - .offset:         3166
        .size:           2
        .value_kind:     hidden_group_size_y
      - .offset:         3168
        .size:           2
        .value_kind:     hidden_group_size_z
      - .offset:         3170
        .size:           2
        .value_kind:     hidden_remainder_x
      - .offset:         3172
        .size:           2
        .value_kind:     hidden_remainder_y
      - .offset:         3174
        .size:           2
        .value_kind:     hidden_remainder_z
      - .offset:         3192
        .size:           8
        .value_kind:     hidden_global_offset_x
      - .offset:         3200
        .size:           8
        .value_kind:     hidden_global_offset_y
      - .offset:         3208
        .size:           8
        .value_kind:     hidden_global_offset_z
      - .offset:         3216
        .size:           2
        .value_kind:     hidden_grid_dims
    .group_segment_fixed_size: 0
    .kernarg_segment_align: 8
    .kernarg_segment_size: 3408
    .language:       OpenCL C
    .language_version:
      - 2
      - 0
    .max_flat_workgroup_size: 512
    .name:           _ZN2at6native12_GLOBAL__N_125multi_tensor_apply_kernelINS1_18TensorListMetadataILi3EEENS1_20TernaryOpListFunctorIN3c107complexIdEELi3ELi3ELi0EEEJNS0_11LerpFunctorIS8_EEEEEvT_T0_DpT1_
    .private_segment_fixed_size: 0
    .sgpr_count:     35
    .sgpr_spill_count: 0
    .symbol:         _ZN2at6native12_GLOBAL__N_125multi_tensor_apply_kernelINS1_18TensorListMetadataILi3EEENS1_20TernaryOpListFunctorIN3c107complexIdEELi3ELi3ELi0EEEJNS0_11LerpFunctorIS8_EEEEEvT_T0_DpT1_.kd
    .uniform_work_group_size: 1
    .uses_dynamic_stack: false
    .vgpr_count:     82
    .vgpr_spill_count: 0
    .wavefront_size: 64
  - .agpr_count:     0
    .args:
      - .offset:         0
        .size:           3144
        .value_kind:     by_value
      - .offset:         3144
        .size:           1
        .value_kind:     by_value
      - .offset:         3145
        .size:           1
        .value_kind:     by_value
      - .offset:         3152
        .size:           4
        .value_kind:     hidden_block_count_x
      - .offset:         3156
        .size:           4
        .value_kind:     hidden_block_count_y
      - .offset:         3160
        .size:           4
        .value_kind:     hidden_block_count_z
      - .offset:         3164
        .size:           2
        .value_kind:     hidden_group_size_x
      - .offset:         3166
        .size:           2
        .value_kind:     hidden_group_size_y
      - .offset:         3168
        .size:           2
        .value_kind:     hidden_group_size_z
      - .offset:         3170
        .size:           2
        .value_kind:     hidden_remainder_x
      - .offset:         3172
        .size:           2
        .value_kind:     hidden_remainder_y
      - .offset:         3174
        .size:           2
        .value_kind:     hidden_remainder_z
      - .offset:         3192
        .size:           8
        .value_kind:     hidden_global_offset_x
      - .offset:         3200
        .size:           8
        .value_kind:     hidden_global_offset_y
      - .offset:         3208
        .size:           8
        .value_kind:     hidden_global_offset_z
      - .offset:         3216
        .size:           2
        .value_kind:     hidden_grid_dims
    .group_segment_fixed_size: 0
    .kernarg_segment_align: 8
    .kernarg_segment_size: 3408
    .language:       OpenCL C
    .language_version:
      - 2
      - 0
    .max_flat_workgroup_size: 512
    .name:           _ZN2at6native12_GLOBAL__N_125multi_tensor_apply_kernelINS1_18TensorListMetadataILi3EEENS1_20TernaryOpListFunctorIN3c107complexIfEELi3ELi3ELi0EEEJNS0_11LerpFunctorIS8_EEEEEvT_T0_DpT1_
    .private_segment_fixed_size: 0
    .sgpr_count:     34
    .sgpr_spill_count: 0
    .symbol:         _ZN2at6native12_GLOBAL__N_125multi_tensor_apply_kernelINS1_18TensorListMetadataILi3EEENS1_20TernaryOpListFunctorIN3c107complexIfEELi3ELi3ELi0EEEJNS0_11LerpFunctorIS8_EEEEEvT_T0_DpT1_.kd
    .uniform_work_group_size: 1
    .uses_dynamic_stack: false
    .vgpr_count:     59
    .vgpr_spill_count: 0
    .wavefront_size: 64
  - .agpr_count:     0
    .args:
      - .offset:         0
        .size:           3144
        .value_kind:     by_value
      - .offset:         3144
        .size:           1
        .value_kind:     by_value
      - .offset:         3145
        .size:           1
        .value_kind:     by_value
      - .offset:         3152
        .size:           4
        .value_kind:     hidden_block_count_x
      - .offset:         3156
        .size:           4
        .value_kind:     hidden_block_count_y
      - .offset:         3160
        .size:           4
        .value_kind:     hidden_block_count_z
      - .offset:         3164
        .size:           2
        .value_kind:     hidden_group_size_x
      - .offset:         3166
        .size:           2
        .value_kind:     hidden_group_size_y
      - .offset:         3168
        .size:           2
        .value_kind:     hidden_group_size_z
      - .offset:         3170
        .size:           2
        .value_kind:     hidden_remainder_x
      - .offset:         3172
        .size:           2
        .value_kind:     hidden_remainder_y
      - .offset:         3174
        .size:           2
        .value_kind:     hidden_remainder_z
      - .offset:         3192
        .size:           8
        .value_kind:     hidden_global_offset_x
      - .offset:         3200
        .size:           8
        .value_kind:     hidden_global_offset_y
      - .offset:         3208
        .size:           8
        .value_kind:     hidden_global_offset_z
      - .offset:         3216
        .size:           2
        .value_kind:     hidden_grid_dims
    .group_segment_fixed_size: 0
    .kernarg_segment_align: 8
    .kernarg_segment_size: 3408
    .language:       OpenCL C
    .language_version:
      - 2
      - 0
    .max_flat_workgroup_size: 512
    .name:           _ZN2at6native12_GLOBAL__N_125multi_tensor_apply_kernelINS1_18TensorListMetadataILi3EEENS1_20TernaryOpListFunctorIN3c104HalfELi3ELi3ELi0EEEJNS0_11LerpFunctorIfEEEEEvT_T0_DpT1_
    .private_segment_fixed_size: 0
    .sgpr_count:     32
    .sgpr_spill_count: 0
    .symbol:         _ZN2at6native12_GLOBAL__N_125multi_tensor_apply_kernelINS1_18TensorListMetadataILi3EEENS1_20TernaryOpListFunctorIN3c104HalfELi3ELi3ELi0EEEJNS0_11LerpFunctorIfEEEEEvT_T0_DpT1_.kd
    .uniform_work_group_size: 1
    .uses_dynamic_stack: false
    .vgpr_count:     46
    .vgpr_spill_count: 0
    .wavefront_size: 64
  - .agpr_count:     0
    .args:
      - .offset:         0
        .size:           3144
        .value_kind:     by_value
      - .offset:         3144
        .size:           1
        .value_kind:     by_value
      - .offset:         3145
        .size:           1
        .value_kind:     by_value
      - .offset:         3152
        .size:           4
        .value_kind:     hidden_block_count_x
      - .offset:         3156
        .size:           4
        .value_kind:     hidden_block_count_y
      - .offset:         3160
        .size:           4
        .value_kind:     hidden_block_count_z
      - .offset:         3164
        .size:           2
        .value_kind:     hidden_group_size_x
      - .offset:         3166
        .size:           2
        .value_kind:     hidden_group_size_y
      - .offset:         3168
        .size:           2
        .value_kind:     hidden_group_size_z
      - .offset:         3170
        .size:           2
        .value_kind:     hidden_remainder_x
      - .offset:         3172
        .size:           2
        .value_kind:     hidden_remainder_y
      - .offset:         3174
        .size:           2
        .value_kind:     hidden_remainder_z
      - .offset:         3192
        .size:           8
        .value_kind:     hidden_global_offset_x
      - .offset:         3200
        .size:           8
        .value_kind:     hidden_global_offset_y
      - .offset:         3208
        .size:           8
        .value_kind:     hidden_global_offset_z
      - .offset:         3216
        .size:           2
        .value_kind:     hidden_grid_dims
    .group_segment_fixed_size: 0
    .kernarg_segment_align: 8
    .kernarg_segment_size: 3408
    .language:       OpenCL C
    .language_version:
      - 2
      - 0
    .max_flat_workgroup_size: 512
    .name:           _ZN2at6native12_GLOBAL__N_125multi_tensor_apply_kernelINS1_18TensorListMetadataILi3EEENS1_20TernaryOpListFunctorIN3c108BFloat16ELi3ELi3ELi0EEEJNS0_11LerpFunctorIfEEEEEvT_T0_DpT1_
    .private_segment_fixed_size: 0
    .sgpr_count:     29
    .sgpr_spill_count: 0
    .symbol:         _ZN2at6native12_GLOBAL__N_125multi_tensor_apply_kernelINS1_18TensorListMetadataILi3EEENS1_20TernaryOpListFunctorIN3c108BFloat16ELi3ELi3ELi0EEEJNS0_11LerpFunctorIfEEEEEvT_T0_DpT1_.kd
    .uniform_work_group_size: 1
    .uses_dynamic_stack: false
    .vgpr_count:     46
    .vgpr_spill_count: 0
    .wavefront_size: 64
  - .agpr_count:     0
    .args:
      - .offset:         0
        .size:           3144
        .value_kind:     by_value
      - .offset:         3144
        .size:           1
        .value_kind:     by_value
      - .offset:         3145
        .size:           1
        .value_kind:     by_value
      - .offset:         3152
        .size:           8
        .value_kind:     by_value
      - .offset:         3160
        .size:           4
        .value_kind:     hidden_block_count_x
      - .offset:         3164
        .size:           4
        .value_kind:     hidden_block_count_y
      - .offset:         3168
        .size:           4
        .value_kind:     hidden_block_count_z
      - .offset:         3172
        .size:           2
        .value_kind:     hidden_group_size_x
      - .offset:         3174
        .size:           2
        .value_kind:     hidden_group_size_y
      - .offset:         3176
        .size:           2
        .value_kind:     hidden_group_size_z
      - .offset:         3178
        .size:           2
        .value_kind:     hidden_remainder_x
      - .offset:         3180
        .size:           2
        .value_kind:     hidden_remainder_y
      - .offset:         3182
        .size:           2
        .value_kind:     hidden_remainder_z
      - .offset:         3200
        .size:           8
        .value_kind:     hidden_global_offset_x
      - .offset:         3208
        .size:           8
        .value_kind:     hidden_global_offset_y
      - .offset:         3216
        .size:           8
        .value_kind:     hidden_global_offset_z
      - .offset:         3224
        .size:           2
        .value_kind:     hidden_grid_dims
    .group_segment_fixed_size: 0
    .kernarg_segment_align: 8
    .kernarg_segment_size: 3416
    .language:       OpenCL C
    .language_version:
      - 2
      - 0
    .max_flat_workgroup_size: 512
    .name:           _ZN2at6native12_GLOBAL__N_125multi_tensor_apply_kernelINS1_18TensorListMetadataILi3EEENS1_22TernaryOpScalarFunctorIdLi3ELi2ELi2EEEJNS0_11LerpFunctorIdEEdEEEvT_T0_DpT1_
    .private_segment_fixed_size: 0
    .sgpr_count:     39
    .sgpr_spill_count: 0
    .symbol:         _ZN2at6native12_GLOBAL__N_125multi_tensor_apply_kernelINS1_18TensorListMetadataILi3EEENS1_22TernaryOpScalarFunctorIdLi3ELi2ELi2EEEJNS0_11LerpFunctorIdEEdEEEvT_T0_DpT1_.kd
    .uniform_work_group_size: 1
    .uses_dynamic_stack: false
    .vgpr_count:     54
    .vgpr_spill_count: 0
    .wavefront_size: 64
  - .agpr_count:     0
    .args:
      - .offset:         0
        .size:           3144
        .value_kind:     by_value
      - .offset:         3144
        .size:           1
        .value_kind:     by_value
      - .offset:         3145
        .size:           1
        .value_kind:     by_value
      - .offset:         3148
        .size:           4
        .value_kind:     by_value
      - .offset:         3152
        .size:           4
        .value_kind:     hidden_block_count_x
      - .offset:         3156
        .size:           4
        .value_kind:     hidden_block_count_y
      - .offset:         3160
        .size:           4
        .value_kind:     hidden_block_count_z
      - .offset:         3164
        .size:           2
        .value_kind:     hidden_group_size_x
      - .offset:         3166
        .size:           2
        .value_kind:     hidden_group_size_y
      - .offset:         3168
        .size:           2
        .value_kind:     hidden_group_size_z
      - .offset:         3170
        .size:           2
        .value_kind:     hidden_remainder_x
      - .offset:         3172
        .size:           2
        .value_kind:     hidden_remainder_y
      - .offset:         3174
        .size:           2
        .value_kind:     hidden_remainder_z
      - .offset:         3192
        .size:           8
        .value_kind:     hidden_global_offset_x
      - .offset:         3200
        .size:           8
        .value_kind:     hidden_global_offset_y
      - .offset:         3208
        .size:           8
        .value_kind:     hidden_global_offset_z
      - .offset:         3216
        .size:           2
        .value_kind:     hidden_grid_dims
    .group_segment_fixed_size: 0
    .kernarg_segment_align: 8
    .kernarg_segment_size: 3408
    .language:       OpenCL C
    .language_version:
      - 2
      - 0
    .max_flat_workgroup_size: 512
    .name:           _ZN2at6native12_GLOBAL__N_125multi_tensor_apply_kernelINS1_18TensorListMetadataILi3EEENS1_22TernaryOpScalarFunctorIfLi3ELi2ELi2EEEJNS0_11LerpFunctorIfEEfEEEvT_T0_DpT1_
    .private_segment_fixed_size: 0
    .sgpr_count:     34
    .sgpr_spill_count: 0
    .symbol:         _ZN2at6native12_GLOBAL__N_125multi_tensor_apply_kernelINS1_18TensorListMetadataILi3EEENS1_22TernaryOpScalarFunctorIfLi3ELi2ELi2EEEJNS0_11LerpFunctorIfEEfEEEvT_T0_DpT1_.kd
    .uniform_work_group_size: 1
    .uses_dynamic_stack: false
    .vgpr_count:     44
    .vgpr_spill_count: 0
    .wavefront_size: 64
  - .agpr_count:     0
    .args:
      - .offset:         0
        .size:           3144
        .value_kind:     by_value
      - .offset:         3144
        .size:           1
        .value_kind:     by_value
      - .offset:         3145
        .size:           1
        .value_kind:     by_value
      - .offset:         3152
        .size:           16
        .value_kind:     by_value
      - .offset:         3168
        .size:           4
        .value_kind:     hidden_block_count_x
      - .offset:         3172
        .size:           4
        .value_kind:     hidden_block_count_y
      - .offset:         3176
        .size:           4
        .value_kind:     hidden_block_count_z
      - .offset:         3180
        .size:           2
        .value_kind:     hidden_group_size_x
      - .offset:         3182
        .size:           2
        .value_kind:     hidden_group_size_y
      - .offset:         3184
        .size:           2
        .value_kind:     hidden_group_size_z
      - .offset:         3186
        .size:           2
        .value_kind:     hidden_remainder_x
      - .offset:         3188
        .size:           2
        .value_kind:     hidden_remainder_y
      - .offset:         3190
        .size:           2
        .value_kind:     hidden_remainder_z
      - .offset:         3208
        .size:           8
        .value_kind:     hidden_global_offset_x
      - .offset:         3216
        .size:           8
        .value_kind:     hidden_global_offset_y
      - .offset:         3224
        .size:           8
        .value_kind:     hidden_global_offset_z
      - .offset:         3232
        .size:           2
        .value_kind:     hidden_grid_dims
    .group_segment_fixed_size: 0
    .kernarg_segment_align: 16
    .kernarg_segment_size: 3424
    .language:       OpenCL C
    .language_version:
      - 2
      - 0
    .max_flat_workgroup_size: 512
    .name:           _ZN2at6native12_GLOBAL__N_125multi_tensor_apply_kernelINS1_18TensorListMetadataILi3EEENS1_22TernaryOpScalarFunctorIN3c107complexIdEELi3ELi2ELi2EEEJNS0_11LerpFunctorIS8_EES8_EEEvT_T0_DpT1_
    .private_segment_fixed_size: 0
    .sgpr_count:     42
    .sgpr_spill_count: 0
    .symbol:         _ZN2at6native12_GLOBAL__N_125multi_tensor_apply_kernelINS1_18TensorListMetadataILi3EEENS1_22TernaryOpScalarFunctorIN3c107complexIdEELi3ELi2ELi2EEEJNS0_11LerpFunctorIS8_EES8_EEEvT_T0_DpT1_.kd
    .uniform_work_group_size: 1
    .uses_dynamic_stack: false
    .vgpr_count:     70
    .vgpr_spill_count: 0
    .wavefront_size: 64
  - .agpr_count:     0
    .args:
      - .offset:         0
        .size:           3144
        .value_kind:     by_value
      - .offset:         3144
        .size:           1
        .value_kind:     by_value
      - .offset:         3145
        .size:           1
        .value_kind:     by_value
      - .offset:         3152
        .size:           8
        .value_kind:     by_value
      - .offset:         3160
        .size:           4
        .value_kind:     hidden_block_count_x
      - .offset:         3164
        .size:           4
        .value_kind:     hidden_block_count_y
      - .offset:         3168
        .size:           4
        .value_kind:     hidden_block_count_z
      - .offset:         3172
        .size:           2
        .value_kind:     hidden_group_size_x
      - .offset:         3174
        .size:           2
        .value_kind:     hidden_group_size_y
      - .offset:         3176
        .size:           2
        .value_kind:     hidden_group_size_z
      - .offset:         3178
        .size:           2
        .value_kind:     hidden_remainder_x
      - .offset:         3180
        .size:           2
        .value_kind:     hidden_remainder_y
      - .offset:         3182
        .size:           2
        .value_kind:     hidden_remainder_z
      - .offset:         3200
        .size:           8
        .value_kind:     hidden_global_offset_x
      - .offset:         3208
        .size:           8
        .value_kind:     hidden_global_offset_y
      - .offset:         3216
        .size:           8
        .value_kind:     hidden_global_offset_z
      - .offset:         3224
        .size:           2
        .value_kind:     hidden_grid_dims
    .group_segment_fixed_size: 0
    .kernarg_segment_align: 8
    .kernarg_segment_size: 3416
    .language:       OpenCL C
    .language_version:
      - 2
      - 0
    .max_flat_workgroup_size: 512
    .name:           _ZN2at6native12_GLOBAL__N_125multi_tensor_apply_kernelINS1_18TensorListMetadataILi3EEENS1_22TernaryOpScalarFunctorIN3c107complexIfEELi3ELi2ELi2EEEJNS0_11LerpFunctorIS8_EES8_EEEvT_T0_DpT1_
    .private_segment_fixed_size: 0
    .sgpr_count:     40
    .sgpr_spill_count: 0
    .symbol:         _ZN2at6native12_GLOBAL__N_125multi_tensor_apply_kernelINS1_18TensorListMetadataILi3EEENS1_22TernaryOpScalarFunctorIN3c107complexIfEELi3ELi2ELi2EEEJNS0_11LerpFunctorIS8_EES8_EEEvT_T0_DpT1_.kd
    .uniform_work_group_size: 1
    .uses_dynamic_stack: false
    .vgpr_count:     60
    .vgpr_spill_count: 0
    .wavefront_size: 64
  - .agpr_count:     0
    .args:
      - .offset:         0
        .size:           3144
        .value_kind:     by_value
      - .offset:         3144
        .size:           1
        .value_kind:     by_value
      - .offset:         3145
        .size:           1
        .value_kind:     by_value
      - .offset:         3148
        .size:           4
        .value_kind:     by_value
      - .offset:         3152
        .size:           4
        .value_kind:     hidden_block_count_x
      - .offset:         3156
        .size:           4
        .value_kind:     hidden_block_count_y
      - .offset:         3160
        .size:           4
        .value_kind:     hidden_block_count_z
      - .offset:         3164
        .size:           2
        .value_kind:     hidden_group_size_x
      - .offset:         3166
        .size:           2
        .value_kind:     hidden_group_size_y
      - .offset:         3168
        .size:           2
        .value_kind:     hidden_group_size_z
      - .offset:         3170
        .size:           2
        .value_kind:     hidden_remainder_x
      - .offset:         3172
        .size:           2
        .value_kind:     hidden_remainder_y
      - .offset:         3174
        .size:           2
        .value_kind:     hidden_remainder_z
      - .offset:         3192
        .size:           8
        .value_kind:     hidden_global_offset_x
      - .offset:         3200
        .size:           8
        .value_kind:     hidden_global_offset_y
      - .offset:         3208
        .size:           8
        .value_kind:     hidden_global_offset_z
      - .offset:         3216
        .size:           2
        .value_kind:     hidden_grid_dims
    .group_segment_fixed_size: 0
    .kernarg_segment_align: 8
    .kernarg_segment_size: 3408
    .language:       OpenCL C
    .language_version:
      - 2
      - 0
    .max_flat_workgroup_size: 512
    .name:           _ZN2at6native12_GLOBAL__N_125multi_tensor_apply_kernelINS1_18TensorListMetadataILi3EEENS1_22TernaryOpScalarFunctorIN3c104HalfELi3ELi2ELi2EEEJNS0_11LerpFunctorIfEEfEEEvT_T0_DpT1_
    .private_segment_fixed_size: 0
    .sgpr_count:     38
    .sgpr_spill_count: 0
    .symbol:         _ZN2at6native12_GLOBAL__N_125multi_tensor_apply_kernelINS1_18TensorListMetadataILi3EEENS1_22TernaryOpScalarFunctorIN3c104HalfELi3ELi2ELi2EEEJNS0_11LerpFunctorIfEEfEEEvT_T0_DpT1_.kd
    .uniform_work_group_size: 1
    .uses_dynamic_stack: false
    .vgpr_count:     44
    .vgpr_spill_count: 0
    .wavefront_size: 64
  - .agpr_count:     0
    .args:
      - .offset:         0
        .size:           3144
        .value_kind:     by_value
      - .offset:         3144
        .size:           1
        .value_kind:     by_value
      - .offset:         3145
        .size:           1
        .value_kind:     by_value
      - .offset:         3148
        .size:           4
        .value_kind:     by_value
      - .offset:         3152
        .size:           4
        .value_kind:     hidden_block_count_x
      - .offset:         3156
        .size:           4
        .value_kind:     hidden_block_count_y
      - .offset:         3160
        .size:           4
        .value_kind:     hidden_block_count_z
      - .offset:         3164
        .size:           2
        .value_kind:     hidden_group_size_x
      - .offset:         3166
        .size:           2
        .value_kind:     hidden_group_size_y
      - .offset:         3168
        .size:           2
        .value_kind:     hidden_group_size_z
      - .offset:         3170
        .size:           2
        .value_kind:     hidden_remainder_x
      - .offset:         3172
        .size:           2
        .value_kind:     hidden_remainder_y
      - .offset:         3174
        .size:           2
        .value_kind:     hidden_remainder_z
      - .offset:         3192
        .size:           8
        .value_kind:     hidden_global_offset_x
      - .offset:         3200
        .size:           8
        .value_kind:     hidden_global_offset_y
      - .offset:         3208
        .size:           8
        .value_kind:     hidden_global_offset_z
      - .offset:         3216
        .size:           2
        .value_kind:     hidden_grid_dims
    .group_segment_fixed_size: 0
    .kernarg_segment_align: 8
    .kernarg_segment_size: 3408
    .language:       OpenCL C
    .language_version:
      - 2
      - 0
    .max_flat_workgroup_size: 512
    .name:           _ZN2at6native12_GLOBAL__N_125multi_tensor_apply_kernelINS1_18TensorListMetadataILi3EEENS1_22TernaryOpScalarFunctorIN3c108BFloat16ELi3ELi2ELi2EEEJNS0_11LerpFunctorIfEEfEEEvT_T0_DpT1_
    .private_segment_fixed_size: 0
    .sgpr_count:     32
    .sgpr_spill_count: 0
    .symbol:         _ZN2at6native12_GLOBAL__N_125multi_tensor_apply_kernelINS1_18TensorListMetadataILi3EEENS1_22TernaryOpScalarFunctorIN3c108BFloat16ELi3ELi2ELi2EEEJNS0_11LerpFunctorIfEEfEEEvT_T0_DpT1_.kd
    .uniform_work_group_size: 1
    .uses_dynamic_stack: false
    .vgpr_count:     42
    .vgpr_spill_count: 0
    .wavefront_size: 64
  - .agpr_count:     0
    .args:
      - .offset:         0
        .size:           3144
        .value_kind:     by_value
      - .offset:         3144
        .size:           1
        .value_kind:     by_value
      - .offset:         3145
        .size:           1
        .value_kind:     by_value
      - .offset:         3152
        .size:           8
        .value_kind:     by_value
      - .offset:         3160
        .size:           4
        .value_kind:     hidden_block_count_x
      - .offset:         3164
        .size:           4
        .value_kind:     hidden_block_count_y
      - .offset:         3168
        .size:           4
        .value_kind:     hidden_block_count_z
      - .offset:         3172
        .size:           2
        .value_kind:     hidden_group_size_x
      - .offset:         3174
        .size:           2
        .value_kind:     hidden_group_size_y
      - .offset:         3176
        .size:           2
        .value_kind:     hidden_group_size_z
      - .offset:         3178
        .size:           2
        .value_kind:     hidden_remainder_x
      - .offset:         3180
        .size:           2
        .value_kind:     hidden_remainder_y
      - .offset:         3182
        .size:           2
        .value_kind:     hidden_remainder_z
      - .offset:         3200
        .size:           8
        .value_kind:     hidden_global_offset_x
      - .offset:         3208
        .size:           8
        .value_kind:     hidden_global_offset_y
      - .offset:         3216
        .size:           8
        .value_kind:     hidden_global_offset_z
      - .offset:         3224
        .size:           2
        .value_kind:     hidden_grid_dims
    .group_segment_fixed_size: 0
    .kernarg_segment_align: 8
    .kernarg_segment_size: 3416
    .language:       OpenCL C
    .language_version:
      - 2
      - 0
    .max_flat_workgroup_size: 512
    .name:           _ZN2at6native12_GLOBAL__N_125multi_tensor_apply_kernelINS1_18TensorListMetadataILi2EEENS1_22TernaryOpScalarFunctorIdLi2ELi2ELi0EEEJNS0_11LerpFunctorIdEEdEEEvT_T0_DpT1_
    .private_segment_fixed_size: 0
    .sgpr_count:     34
    .sgpr_spill_count: 0
    .symbol:         _ZN2at6native12_GLOBAL__N_125multi_tensor_apply_kernelINS1_18TensorListMetadataILi2EEENS1_22TernaryOpScalarFunctorIdLi2ELi2ELi0EEEJNS0_11LerpFunctorIdEEdEEEvT_T0_DpT1_.kd
    .uniform_work_group_size: 1
    .uses_dynamic_stack: false
    .vgpr_count:     46
    .vgpr_spill_count: 0
    .wavefront_size: 64
  - .agpr_count:     0
    .args:
      - .offset:         0
        .size:           3144
        .value_kind:     by_value
      - .offset:         3144
        .size:           1
        .value_kind:     by_value
      - .offset:         3145
        .size:           1
        .value_kind:     by_value
      - .offset:         3148
        .size:           4
        .value_kind:     by_value
      - .offset:         3152
        .size:           4
        .value_kind:     hidden_block_count_x
      - .offset:         3156
        .size:           4
        .value_kind:     hidden_block_count_y
      - .offset:         3160
        .size:           4
        .value_kind:     hidden_block_count_z
      - .offset:         3164
        .size:           2
        .value_kind:     hidden_group_size_x
      - .offset:         3166
        .size:           2
        .value_kind:     hidden_group_size_y
      - .offset:         3168
        .size:           2
        .value_kind:     hidden_group_size_z
      - .offset:         3170
        .size:           2
        .value_kind:     hidden_remainder_x
      - .offset:         3172
        .size:           2
        .value_kind:     hidden_remainder_y
      - .offset:         3174
        .size:           2
        .value_kind:     hidden_remainder_z
      - .offset:         3192
        .size:           8
        .value_kind:     hidden_global_offset_x
      - .offset:         3200
        .size:           8
        .value_kind:     hidden_global_offset_y
      - .offset:         3208
        .size:           8
        .value_kind:     hidden_global_offset_z
      - .offset:         3216
        .size:           2
        .value_kind:     hidden_grid_dims
    .group_segment_fixed_size: 0
    .kernarg_segment_align: 8
    .kernarg_segment_size: 3408
    .language:       OpenCL C
    .language_version:
      - 2
      - 0
    .max_flat_workgroup_size: 512
    .name:           _ZN2at6native12_GLOBAL__N_125multi_tensor_apply_kernelINS1_18TensorListMetadataILi2EEENS1_22TernaryOpScalarFunctorIfLi2ELi2ELi0EEEJNS0_11LerpFunctorIfEEfEEEvT_T0_DpT1_
    .private_segment_fixed_size: 0
    .sgpr_count:     32
    .sgpr_spill_count: 0
    .symbol:         _ZN2at6native12_GLOBAL__N_125multi_tensor_apply_kernelINS1_18TensorListMetadataILi2EEENS1_22TernaryOpScalarFunctorIfLi2ELi2ELi0EEEJNS0_11LerpFunctorIfEEfEEEvT_T0_DpT1_.kd
    .uniform_work_group_size: 1
    .uses_dynamic_stack: false
    .vgpr_count:     36
    .vgpr_spill_count: 0
    .wavefront_size: 64
  - .agpr_count:     0
    .args:
      - .offset:         0
        .size:           3144
        .value_kind:     by_value
      - .offset:         3144
        .size:           1
        .value_kind:     by_value
      - .offset:         3145
        .size:           1
        .value_kind:     by_value
      - .offset:         3152
        .size:           16
        .value_kind:     by_value
      - .offset:         3168
        .size:           4
        .value_kind:     hidden_block_count_x
      - .offset:         3172
        .size:           4
        .value_kind:     hidden_block_count_y
      - .offset:         3176
        .size:           4
        .value_kind:     hidden_block_count_z
      - .offset:         3180
        .size:           2
        .value_kind:     hidden_group_size_x
      - .offset:         3182
        .size:           2
        .value_kind:     hidden_group_size_y
      - .offset:         3184
        .size:           2
        .value_kind:     hidden_group_size_z
      - .offset:         3186
        .size:           2
        .value_kind:     hidden_remainder_x
      - .offset:         3188
        .size:           2
        .value_kind:     hidden_remainder_y
      - .offset:         3190
        .size:           2
        .value_kind:     hidden_remainder_z
      - .offset:         3208
        .size:           8
        .value_kind:     hidden_global_offset_x
      - .offset:         3216
        .size:           8
        .value_kind:     hidden_global_offset_y
      - .offset:         3224
        .size:           8
        .value_kind:     hidden_global_offset_z
      - .offset:         3232
        .size:           2
        .value_kind:     hidden_grid_dims
    .group_segment_fixed_size: 0
    .kernarg_segment_align: 16
    .kernarg_segment_size: 3424
    .language:       OpenCL C
    .language_version:
      - 2
      - 0
    .max_flat_workgroup_size: 512
    .name:           _ZN2at6native12_GLOBAL__N_125multi_tensor_apply_kernelINS1_18TensorListMetadataILi2EEENS1_22TernaryOpScalarFunctorIN3c107complexIdEELi2ELi2ELi0EEEJNS0_11LerpFunctorIS8_EES8_EEEvT_T0_DpT1_
    .private_segment_fixed_size: 0
    .sgpr_count:     41
    .sgpr_spill_count: 0
    .symbol:         _ZN2at6native12_GLOBAL__N_125multi_tensor_apply_kernelINS1_18TensorListMetadataILi2EEENS1_22TernaryOpScalarFunctorIN3c107complexIdEELi2ELi2ELi0EEEJNS0_11LerpFunctorIS8_EES8_EEEvT_T0_DpT1_.kd
    .uniform_work_group_size: 1
    .uses_dynamic_stack: false
    .vgpr_count:     62
    .vgpr_spill_count: 0
    .wavefront_size: 64
  - .agpr_count:     0
    .args:
      - .offset:         0
        .size:           3144
        .value_kind:     by_value
      - .offset:         3144
        .size:           1
        .value_kind:     by_value
      - .offset:         3145
        .size:           1
        .value_kind:     by_value
      - .offset:         3152
        .size:           8
        .value_kind:     by_value
      - .offset:         3160
        .size:           4
        .value_kind:     hidden_block_count_x
      - .offset:         3164
        .size:           4
        .value_kind:     hidden_block_count_y
      - .offset:         3168
        .size:           4
        .value_kind:     hidden_block_count_z
      - .offset:         3172
        .size:           2
        .value_kind:     hidden_group_size_x
      - .offset:         3174
        .size:           2
        .value_kind:     hidden_group_size_y
      - .offset:         3176
        .size:           2
        .value_kind:     hidden_group_size_z
      - .offset:         3178
        .size:           2
        .value_kind:     hidden_remainder_x
      - .offset:         3180
        .size:           2
        .value_kind:     hidden_remainder_y
      - .offset:         3182
        .size:           2
        .value_kind:     hidden_remainder_z
      - .offset:         3200
        .size:           8
        .value_kind:     hidden_global_offset_x
      - .offset:         3208
        .size:           8
        .value_kind:     hidden_global_offset_y
      - .offset:         3216
        .size:           8
        .value_kind:     hidden_global_offset_z
      - .offset:         3224
        .size:           2
        .value_kind:     hidden_grid_dims
    .group_segment_fixed_size: 0
    .kernarg_segment_align: 8
    .kernarg_segment_size: 3416
    .language:       OpenCL C
    .language_version:
      - 2
      - 0
    .max_flat_workgroup_size: 512
    .name:           _ZN2at6native12_GLOBAL__N_125multi_tensor_apply_kernelINS1_18TensorListMetadataILi2EEENS1_22TernaryOpScalarFunctorIN3c107complexIfEELi2ELi2ELi0EEEJNS0_11LerpFunctorIS8_EES8_EEEvT_T0_DpT1_
    .private_segment_fixed_size: 0
    .sgpr_count:     35
    .sgpr_spill_count: 0
    .symbol:         _ZN2at6native12_GLOBAL__N_125multi_tensor_apply_kernelINS1_18TensorListMetadataILi2EEENS1_22TernaryOpScalarFunctorIN3c107complexIfEELi2ELi2ELi0EEEJNS0_11LerpFunctorIS8_EES8_EEEvT_T0_DpT1_.kd
    .uniform_work_group_size: 1
    .uses_dynamic_stack: false
    .vgpr_count:     52
    .vgpr_spill_count: 0
    .wavefront_size: 64
  - .agpr_count:     0
    .args:
      - .offset:         0
        .size:           3144
        .value_kind:     by_value
      - .offset:         3144
        .size:           1
        .value_kind:     by_value
      - .offset:         3145
        .size:           1
        .value_kind:     by_value
      - .offset:         3148
        .size:           4
        .value_kind:     by_value
      - .offset:         3152
        .size:           4
        .value_kind:     hidden_block_count_x
      - .offset:         3156
        .size:           4
        .value_kind:     hidden_block_count_y
      - .offset:         3160
        .size:           4
        .value_kind:     hidden_block_count_z
      - .offset:         3164
        .size:           2
        .value_kind:     hidden_group_size_x
      - .offset:         3166
        .size:           2
        .value_kind:     hidden_group_size_y
      - .offset:         3168
        .size:           2
        .value_kind:     hidden_group_size_z
      - .offset:         3170
        .size:           2
        .value_kind:     hidden_remainder_x
      - .offset:         3172
        .size:           2
        .value_kind:     hidden_remainder_y
      - .offset:         3174
        .size:           2
        .value_kind:     hidden_remainder_z
      - .offset:         3192
        .size:           8
        .value_kind:     hidden_global_offset_x
      - .offset:         3200
        .size:           8
        .value_kind:     hidden_global_offset_y
      - .offset:         3208
        .size:           8
        .value_kind:     hidden_global_offset_z
      - .offset:         3216
        .size:           2
        .value_kind:     hidden_grid_dims
    .group_segment_fixed_size: 0
    .kernarg_segment_align: 8
    .kernarg_segment_size: 3408
    .language:       OpenCL C
    .language_version:
      - 2
      - 0
    .max_flat_workgroup_size: 512
    .name:           _ZN2at6native12_GLOBAL__N_125multi_tensor_apply_kernelINS1_18TensorListMetadataILi2EEENS1_22TernaryOpScalarFunctorIN3c104HalfELi2ELi2ELi0EEEJNS0_11LerpFunctorIfEEfEEEvT_T0_DpT1_
    .private_segment_fixed_size: 0
    .sgpr_count:     33
    .sgpr_spill_count: 0
    .symbol:         _ZN2at6native12_GLOBAL__N_125multi_tensor_apply_kernelINS1_18TensorListMetadataILi2EEENS1_22TernaryOpScalarFunctorIN3c104HalfELi2ELi2ELi0EEEJNS0_11LerpFunctorIfEEfEEEvT_T0_DpT1_.kd
    .uniform_work_group_size: 1
    .uses_dynamic_stack: false
    .vgpr_count:     36
    .vgpr_spill_count: 0
    .wavefront_size: 64
  - .agpr_count:     0
    .args:
      - .offset:         0
        .size:           3144
        .value_kind:     by_value
      - .offset:         3144
        .size:           1
        .value_kind:     by_value
      - .offset:         3145
        .size:           1
        .value_kind:     by_value
      - .offset:         3148
        .size:           4
        .value_kind:     by_value
      - .offset:         3152
        .size:           4
        .value_kind:     hidden_block_count_x
      - .offset:         3156
        .size:           4
        .value_kind:     hidden_block_count_y
      - .offset:         3160
        .size:           4
        .value_kind:     hidden_block_count_z
      - .offset:         3164
        .size:           2
        .value_kind:     hidden_group_size_x
      - .offset:         3166
        .size:           2
        .value_kind:     hidden_group_size_y
      - .offset:         3168
        .size:           2
        .value_kind:     hidden_group_size_z
      - .offset:         3170
        .size:           2
        .value_kind:     hidden_remainder_x
      - .offset:         3172
        .size:           2
        .value_kind:     hidden_remainder_y
      - .offset:         3174
        .size:           2
        .value_kind:     hidden_remainder_z
      - .offset:         3192
        .size:           8
        .value_kind:     hidden_global_offset_x
      - .offset:         3200
        .size:           8
        .value_kind:     hidden_global_offset_y
      - .offset:         3208
        .size:           8
        .value_kind:     hidden_global_offset_z
      - .offset:         3216
        .size:           2
        .value_kind:     hidden_grid_dims
    .group_segment_fixed_size: 0
    .kernarg_segment_align: 8
    .kernarg_segment_size: 3408
    .language:       OpenCL C
    .language_version:
      - 2
      - 0
    .max_flat_workgroup_size: 512
    .name:           _ZN2at6native12_GLOBAL__N_125multi_tensor_apply_kernelINS1_18TensorListMetadataILi2EEENS1_22TernaryOpScalarFunctorIN3c108BFloat16ELi2ELi2ELi0EEEJNS0_11LerpFunctorIfEEfEEEvT_T0_DpT1_
    .private_segment_fixed_size: 0
    .sgpr_count:     30
    .sgpr_spill_count: 0
    .symbol:         _ZN2at6native12_GLOBAL__N_125multi_tensor_apply_kernelINS1_18TensorListMetadataILi2EEENS1_22TernaryOpScalarFunctorIN3c108BFloat16ELi2ELi2ELi0EEEJNS0_11LerpFunctorIfEEfEEEvT_T0_DpT1_.kd
    .uniform_work_group_size: 1
    .uses_dynamic_stack: false
    .vgpr_count:     34
    .vgpr_spill_count: 0
    .wavefront_size: 64
  - .agpr_count:     0
    .args:
      - .offset:         0
        .size:           3520
        .value_kind:     by_value
      - .offset:         3520
        .size:           1
        .value_kind:     by_value
      - .offset:         3521
        .size:           1
        .value_kind:     by_value
      - .offset:         3528
        .size:           4
        .value_kind:     hidden_block_count_x
      - .offset:         3532
        .size:           4
        .value_kind:     hidden_block_count_y
      - .offset:         3536
        .size:           4
        .value_kind:     hidden_block_count_z
      - .offset:         3540
        .size:           2
        .value_kind:     hidden_group_size_x
      - .offset:         3542
        .size:           2
        .value_kind:     hidden_group_size_y
      - .offset:         3544
        .size:           2
        .value_kind:     hidden_group_size_z
      - .offset:         3546
        .size:           2
        .value_kind:     hidden_remainder_x
      - .offset:         3548
        .size:           2
        .value_kind:     hidden_remainder_y
      - .offset:         3550
        .size:           2
        .value_kind:     hidden_remainder_z
      - .offset:         3568
        .size:           8
        .value_kind:     hidden_global_offset_x
      - .offset:         3576
        .size:           8
        .value_kind:     hidden_global_offset_y
      - .offset:         3584
        .size:           8
        .value_kind:     hidden_global_offset_z
      - .offset:         3592
        .size:           2
        .value_kind:     hidden_grid_dims
    .group_segment_fixed_size: 0
    .kernarg_segment_align: 8
    .kernarg_segment_size: 3784
    .language:       OpenCL C
    .language_version:
      - 2
      - 0
    .max_flat_workgroup_size: 512
    .name:           _ZN2at6native12_GLOBAL__N_125multi_tensor_apply_kernelINS1_28TensorListScalarListMetadataIdLi3EEENS1_26TernaryOpScalarListFunctorIdLi3ELi2ELi2EEEJNS0_11LerpFunctorIdEEEEEvT_T0_DpT1_
    .private_segment_fixed_size: 0
    .sgpr_count:     39
    .sgpr_spill_count: 0
    .symbol:         _ZN2at6native12_GLOBAL__N_125multi_tensor_apply_kernelINS1_28TensorListScalarListMetadataIdLi3EEENS1_26TernaryOpScalarListFunctorIdLi3ELi2ELi2EEEJNS0_11LerpFunctorIdEEEEEvT_T0_DpT1_.kd
    .uniform_work_group_size: 1
    .uses_dynamic_stack: false
    .vgpr_count:     54
    .vgpr_spill_count: 0
    .wavefront_size: 64
  - .agpr_count:     0
    .args:
      - .offset:         0
        .size:           3328
        .value_kind:     by_value
      - .offset:         3328
        .size:           1
        .value_kind:     by_value
      - .offset:         3329
        .size:           1
        .value_kind:     by_value
      - .offset:         3336
        .size:           4
        .value_kind:     hidden_block_count_x
      - .offset:         3340
        .size:           4
        .value_kind:     hidden_block_count_y
      - .offset:         3344
        .size:           4
        .value_kind:     hidden_block_count_z
      - .offset:         3348
        .size:           2
        .value_kind:     hidden_group_size_x
      - .offset:         3350
        .size:           2
        .value_kind:     hidden_group_size_y
      - .offset:         3352
        .size:           2
        .value_kind:     hidden_group_size_z
      - .offset:         3354
        .size:           2
        .value_kind:     hidden_remainder_x
      - .offset:         3356
        .size:           2
        .value_kind:     hidden_remainder_y
      - .offset:         3358
        .size:           2
        .value_kind:     hidden_remainder_z
      - .offset:         3376
        .size:           8
        .value_kind:     hidden_global_offset_x
      - .offset:         3384
        .size:           8
        .value_kind:     hidden_global_offset_y
      - .offset:         3392
        .size:           8
        .value_kind:     hidden_global_offset_z
      - .offset:         3400
        .size:           2
        .value_kind:     hidden_grid_dims
    .group_segment_fixed_size: 0
    .kernarg_segment_align: 8
    .kernarg_segment_size: 3592
    .language:       OpenCL C
    .language_version:
      - 2
      - 0
    .max_flat_workgroup_size: 512
    .name:           _ZN2at6native12_GLOBAL__N_125multi_tensor_apply_kernelINS1_28TensorListScalarListMetadataIfLi3EEENS1_26TernaryOpScalarListFunctorIfLi3ELi2ELi2EEEJNS0_11LerpFunctorIfEEEEEvT_T0_DpT1_
    .private_segment_fixed_size: 0
    .sgpr_count:     34
    .sgpr_spill_count: 0
    .symbol:         _ZN2at6native12_GLOBAL__N_125multi_tensor_apply_kernelINS1_28TensorListScalarListMetadataIfLi3EEENS1_26TernaryOpScalarListFunctorIfLi3ELi2ELi2EEEJNS0_11LerpFunctorIfEEEEEvT_T0_DpT1_.kd
    .uniform_work_group_size: 1
    .uses_dynamic_stack: false
    .vgpr_count:     44
    .vgpr_spill_count: 0
    .wavefront_size: 64
  - .agpr_count:     0
    .args:
      - .offset:         0
        .size:           3904
        .value_kind:     by_value
      - .offset:         3904
        .size:           1
        .value_kind:     by_value
      - .offset:         3905
        .size:           1
        .value_kind:     by_value
      - .offset:         3912
        .size:           4
        .value_kind:     hidden_block_count_x
      - .offset:         3916
        .size:           4
        .value_kind:     hidden_block_count_y
      - .offset:         3920
        .size:           4
        .value_kind:     hidden_block_count_z
      - .offset:         3924
        .size:           2
        .value_kind:     hidden_group_size_x
      - .offset:         3926
        .size:           2
        .value_kind:     hidden_group_size_y
      - .offset:         3928
        .size:           2
        .value_kind:     hidden_group_size_z
      - .offset:         3930
        .size:           2
        .value_kind:     hidden_remainder_x
      - .offset:         3932
        .size:           2
        .value_kind:     hidden_remainder_y
      - .offset:         3934
        .size:           2
        .value_kind:     hidden_remainder_z
      - .offset:         3952
        .size:           8
        .value_kind:     hidden_global_offset_x
      - .offset:         3960
        .size:           8
        .value_kind:     hidden_global_offset_y
      - .offset:         3968
        .size:           8
        .value_kind:     hidden_global_offset_z
      - .offset:         3976
        .size:           2
        .value_kind:     hidden_grid_dims
    .group_segment_fixed_size: 0
    .kernarg_segment_align: 16
    .kernarg_segment_size: 4168
    .language:       OpenCL C
    .language_version:
      - 2
      - 0
    .max_flat_workgroup_size: 512
    .name:           _ZN2at6native12_GLOBAL__N_125multi_tensor_apply_kernelINS1_28TensorListScalarListMetadataIN3c107complexIdEELi3EEENS1_26TernaryOpScalarListFunctorIS6_Li3ELi2ELi2EEEJNS0_11LerpFunctorIS6_EEEEEvT_T0_DpT1_
    .private_segment_fixed_size: 0
    .sgpr_count:     42
    .sgpr_spill_count: 0
    .symbol:         _ZN2at6native12_GLOBAL__N_125multi_tensor_apply_kernelINS1_28TensorListScalarListMetadataIN3c107complexIdEELi3EEENS1_26TernaryOpScalarListFunctorIS6_Li3ELi2ELi2EEEJNS0_11LerpFunctorIS6_EEEEEvT_T0_DpT1_.kd
    .uniform_work_group_size: 1
    .uses_dynamic_stack: false
    .vgpr_count:     70
    .vgpr_spill_count: 0
    .wavefront_size: 64
  - .agpr_count:     0
    .args:
      - .offset:         0
        .size:           3520
        .value_kind:     by_value
      - .offset:         3520
        .size:           1
        .value_kind:     by_value
      - .offset:         3521
        .size:           1
        .value_kind:     by_value
      - .offset:         3528
        .size:           4
        .value_kind:     hidden_block_count_x
      - .offset:         3532
        .size:           4
        .value_kind:     hidden_block_count_y
      - .offset:         3536
        .size:           4
        .value_kind:     hidden_block_count_z
      - .offset:         3540
        .size:           2
        .value_kind:     hidden_group_size_x
      - .offset:         3542
        .size:           2
        .value_kind:     hidden_group_size_y
      - .offset:         3544
        .size:           2
        .value_kind:     hidden_group_size_z
      - .offset:         3546
        .size:           2
        .value_kind:     hidden_remainder_x
      - .offset:         3548
        .size:           2
        .value_kind:     hidden_remainder_y
      - .offset:         3550
        .size:           2
        .value_kind:     hidden_remainder_z
      - .offset:         3568
        .size:           8
        .value_kind:     hidden_global_offset_x
      - .offset:         3576
        .size:           8
        .value_kind:     hidden_global_offset_y
      - .offset:         3584
        .size:           8
        .value_kind:     hidden_global_offset_z
      - .offset:         3592
        .size:           2
        .value_kind:     hidden_grid_dims
    .group_segment_fixed_size: 0
    .kernarg_segment_align: 8
    .kernarg_segment_size: 3784
    .language:       OpenCL C
    .language_version:
      - 2
      - 0
    .max_flat_workgroup_size: 512
    .name:           _ZN2at6native12_GLOBAL__N_125multi_tensor_apply_kernelINS1_28TensorListScalarListMetadataIN3c107complexIfEELi3EEENS1_26TernaryOpScalarListFunctorIS6_Li3ELi2ELi2EEEJNS0_11LerpFunctorIS6_EEEEEvT_T0_DpT1_
    .private_segment_fixed_size: 0
    .sgpr_count:     40
    .sgpr_spill_count: 0
    .symbol:         _ZN2at6native12_GLOBAL__N_125multi_tensor_apply_kernelINS1_28TensorListScalarListMetadataIN3c107complexIfEELi3EEENS1_26TernaryOpScalarListFunctorIS6_Li3ELi2ELi2EEEJNS0_11LerpFunctorIS6_EEEEEvT_T0_DpT1_.kd
    .uniform_work_group_size: 1
    .uses_dynamic_stack: false
    .vgpr_count:     60
    .vgpr_spill_count: 0
    .wavefront_size: 64
  - .agpr_count:     0
    .args:
      - .offset:         0
        .size:           3328
        .value_kind:     by_value
      - .offset:         3328
        .size:           1
        .value_kind:     by_value
      - .offset:         3329
        .size:           1
        .value_kind:     by_value
      - .offset:         3336
        .size:           4
        .value_kind:     hidden_block_count_x
      - .offset:         3340
        .size:           4
        .value_kind:     hidden_block_count_y
      - .offset:         3344
        .size:           4
        .value_kind:     hidden_block_count_z
      - .offset:         3348
        .size:           2
        .value_kind:     hidden_group_size_x
      - .offset:         3350
        .size:           2
        .value_kind:     hidden_group_size_y
      - .offset:         3352
        .size:           2
        .value_kind:     hidden_group_size_z
      - .offset:         3354
        .size:           2
        .value_kind:     hidden_remainder_x
      - .offset:         3356
        .size:           2
        .value_kind:     hidden_remainder_y
      - .offset:         3358
        .size:           2
        .value_kind:     hidden_remainder_z
      - .offset:         3376
        .size:           8
        .value_kind:     hidden_global_offset_x
      - .offset:         3384
        .size:           8
        .value_kind:     hidden_global_offset_y
      - .offset:         3392
        .size:           8
        .value_kind:     hidden_global_offset_z
      - .offset:         3400
        .size:           2
        .value_kind:     hidden_grid_dims
    .group_segment_fixed_size: 0
    .kernarg_segment_align: 8
    .kernarg_segment_size: 3592
    .language:       OpenCL C
    .language_version:
      - 2
      - 0
    .max_flat_workgroup_size: 512
    .name:           _ZN2at6native12_GLOBAL__N_125multi_tensor_apply_kernelINS1_28TensorListScalarListMetadataIfLi3EEENS1_26TernaryOpScalarListFunctorIN3c104HalfELi3ELi2ELi2EEEJNS0_11LerpFunctorIfEEEEEvT_T0_DpT1_
    .private_segment_fixed_size: 0
    .sgpr_count:     38
    .sgpr_spill_count: 0
    .symbol:         _ZN2at6native12_GLOBAL__N_125multi_tensor_apply_kernelINS1_28TensorListScalarListMetadataIfLi3EEENS1_26TernaryOpScalarListFunctorIN3c104HalfELi3ELi2ELi2EEEJNS0_11LerpFunctorIfEEEEEvT_T0_DpT1_.kd
    .uniform_work_group_size: 1
    .uses_dynamic_stack: false
    .vgpr_count:     44
    .vgpr_spill_count: 0
    .wavefront_size: 64
  - .agpr_count:     0
    .args:
      - .offset:         0
        .size:           3328
        .value_kind:     by_value
      - .offset:         3328
        .size:           1
        .value_kind:     by_value
      - .offset:         3329
        .size:           1
        .value_kind:     by_value
      - .offset:         3336
        .size:           4
        .value_kind:     hidden_block_count_x
      - .offset:         3340
        .size:           4
        .value_kind:     hidden_block_count_y
      - .offset:         3344
        .size:           4
        .value_kind:     hidden_block_count_z
      - .offset:         3348
        .size:           2
        .value_kind:     hidden_group_size_x
      - .offset:         3350
        .size:           2
        .value_kind:     hidden_group_size_y
      - .offset:         3352
        .size:           2
        .value_kind:     hidden_group_size_z
      - .offset:         3354
        .size:           2
        .value_kind:     hidden_remainder_x
      - .offset:         3356
        .size:           2
        .value_kind:     hidden_remainder_y
      - .offset:         3358
        .size:           2
        .value_kind:     hidden_remainder_z
      - .offset:         3376
        .size:           8
        .value_kind:     hidden_global_offset_x
      - .offset:         3384
        .size:           8
        .value_kind:     hidden_global_offset_y
      - .offset:         3392
        .size:           8
        .value_kind:     hidden_global_offset_z
      - .offset:         3400
        .size:           2
        .value_kind:     hidden_grid_dims
    .group_segment_fixed_size: 0
    .kernarg_segment_align: 8
    .kernarg_segment_size: 3592
    .language:       OpenCL C
    .language_version:
      - 2
      - 0
    .max_flat_workgroup_size: 512
    .name:           _ZN2at6native12_GLOBAL__N_125multi_tensor_apply_kernelINS1_28TensorListScalarListMetadataIfLi3EEENS1_26TernaryOpScalarListFunctorIN3c108BFloat16ELi3ELi2ELi2EEEJNS0_11LerpFunctorIfEEEEEvT_T0_DpT1_
    .private_segment_fixed_size: 0
    .sgpr_count:     32
    .sgpr_spill_count: 0
    .symbol:         _ZN2at6native12_GLOBAL__N_125multi_tensor_apply_kernelINS1_28TensorListScalarListMetadataIfLi3EEENS1_26TernaryOpScalarListFunctorIN3c108BFloat16ELi3ELi2ELi2EEEJNS0_11LerpFunctorIfEEEEEvT_T0_DpT1_.kd
    .uniform_work_group_size: 1
    .uses_dynamic_stack: false
    .vgpr_count:     42
    .vgpr_spill_count: 0
    .wavefront_size: 64
  - .agpr_count:     0
    .args:
      - .offset:         0
        .size:           3648
        .value_kind:     by_value
      - .offset:         3648
        .size:           1
        .value_kind:     by_value
      - .offset:         3649
        .size:           1
        .value_kind:     by_value
      - .offset:         3656
        .size:           4
        .value_kind:     hidden_block_count_x
      - .offset:         3660
        .size:           4
        .value_kind:     hidden_block_count_y
      - .offset:         3664
        .size:           4
        .value_kind:     hidden_block_count_z
      - .offset:         3668
        .size:           2
        .value_kind:     hidden_group_size_x
      - .offset:         3670
        .size:           2
        .value_kind:     hidden_group_size_y
      - .offset:         3672
        .size:           2
        .value_kind:     hidden_group_size_z
      - .offset:         3674
        .size:           2
        .value_kind:     hidden_remainder_x
      - .offset:         3676
        .size:           2
        .value_kind:     hidden_remainder_y
      - .offset:         3678
        .size:           2
        .value_kind:     hidden_remainder_z
      - .offset:         3696
        .size:           8
        .value_kind:     hidden_global_offset_x
      - .offset:         3704
        .size:           8
        .value_kind:     hidden_global_offset_y
      - .offset:         3712
        .size:           8
        .value_kind:     hidden_global_offset_z
      - .offset:         3720
        .size:           2
        .value_kind:     hidden_grid_dims
    .group_segment_fixed_size: 0
    .kernarg_segment_align: 8
    .kernarg_segment_size: 3912
    .language:       OpenCL C
    .language_version:
      - 2
      - 0
    .max_flat_workgroup_size: 512
    .name:           _ZN2at6native12_GLOBAL__N_125multi_tensor_apply_kernelINS1_28TensorListScalarListMetadataIdLi2EEENS1_26TernaryOpScalarListFunctorIdLi2ELi2ELi0EEEJNS0_11LerpFunctorIdEEEEEvT_T0_DpT1_
    .private_segment_fixed_size: 0
    .sgpr_count:     34
    .sgpr_spill_count: 0
    .symbol:         _ZN2at6native12_GLOBAL__N_125multi_tensor_apply_kernelINS1_28TensorListScalarListMetadataIdLi2EEENS1_26TernaryOpScalarListFunctorIdLi2ELi2ELi0EEEJNS0_11LerpFunctorIdEEEEEvT_T0_DpT1_.kd
    .uniform_work_group_size: 1
    .uses_dynamic_stack: false
    .vgpr_count:     46
    .vgpr_spill_count: 0
    .wavefront_size: 64
  - .agpr_count:     0
    .args:
      - .offset:         0
        .size:           3392
        .value_kind:     by_value
      - .offset:         3392
        .size:           1
        .value_kind:     by_value
      - .offset:         3393
        .size:           1
        .value_kind:     by_value
      - .offset:         3400
        .size:           4
        .value_kind:     hidden_block_count_x
      - .offset:         3404
        .size:           4
        .value_kind:     hidden_block_count_y
      - .offset:         3408
        .size:           4
        .value_kind:     hidden_block_count_z
      - .offset:         3412
        .size:           2
        .value_kind:     hidden_group_size_x
      - .offset:         3414
        .size:           2
        .value_kind:     hidden_group_size_y
      - .offset:         3416
        .size:           2
        .value_kind:     hidden_group_size_z
      - .offset:         3418
        .size:           2
        .value_kind:     hidden_remainder_x
      - .offset:         3420
        .size:           2
        .value_kind:     hidden_remainder_y
      - .offset:         3422
        .size:           2
        .value_kind:     hidden_remainder_z
      - .offset:         3440
        .size:           8
        .value_kind:     hidden_global_offset_x
      - .offset:         3448
        .size:           8
        .value_kind:     hidden_global_offset_y
      - .offset:         3456
        .size:           8
        .value_kind:     hidden_global_offset_z
      - .offset:         3464
        .size:           2
        .value_kind:     hidden_grid_dims
    .group_segment_fixed_size: 0
    .kernarg_segment_align: 8
    .kernarg_segment_size: 3656
    .language:       OpenCL C
    .language_version:
      - 2
      - 0
    .max_flat_workgroup_size: 512
    .name:           _ZN2at6native12_GLOBAL__N_125multi_tensor_apply_kernelINS1_28TensorListScalarListMetadataIfLi2EEENS1_26TernaryOpScalarListFunctorIfLi2ELi2ELi0EEEJNS0_11LerpFunctorIfEEEEEvT_T0_DpT1_
    .private_segment_fixed_size: 0
    .sgpr_count:     32
    .sgpr_spill_count: 0
    .symbol:         _ZN2at6native12_GLOBAL__N_125multi_tensor_apply_kernelINS1_28TensorListScalarListMetadataIfLi2EEENS1_26TernaryOpScalarListFunctorIfLi2ELi2ELi0EEEJNS0_11LerpFunctorIfEEEEEvT_T0_DpT1_.kd
    .uniform_work_group_size: 1
    .uses_dynamic_stack: false
    .vgpr_count:     36
    .vgpr_spill_count: 0
    .wavefront_size: 64
  - .agpr_count:     0
    .args:
      - .offset:         0
        .size:           4000
        .value_kind:     by_value
      - .offset:         4000
        .size:           1
        .value_kind:     by_value
      - .offset:         4001
        .size:           1
        .value_kind:     by_value
      - .offset:         4008
        .size:           4
        .value_kind:     hidden_block_count_x
      - .offset:         4012
        .size:           4
        .value_kind:     hidden_block_count_y
      - .offset:         4016
        .size:           4
        .value_kind:     hidden_block_count_z
      - .offset:         4020
        .size:           2
        .value_kind:     hidden_group_size_x
      - .offset:         4022
        .size:           2
        .value_kind:     hidden_group_size_y
      - .offset:         4024
        .size:           2
        .value_kind:     hidden_group_size_z
      - .offset:         4026
        .size:           2
        .value_kind:     hidden_remainder_x
      - .offset:         4028
        .size:           2
        .value_kind:     hidden_remainder_y
      - .offset:         4030
        .size:           2
        .value_kind:     hidden_remainder_z
      - .offset:         4048
        .size:           8
        .value_kind:     hidden_global_offset_x
      - .offset:         4056
        .size:           8
        .value_kind:     hidden_global_offset_y
      - .offset:         4064
        .size:           8
        .value_kind:     hidden_global_offset_z
      - .offset:         4072
        .size:           2
        .value_kind:     hidden_grid_dims
    .group_segment_fixed_size: 0
    .kernarg_segment_align: 16
    .kernarg_segment_size: 4264
    .language:       OpenCL C
    .language_version:
      - 2
      - 0
    .max_flat_workgroup_size: 512
    .name:           _ZN2at6native12_GLOBAL__N_125multi_tensor_apply_kernelINS1_28TensorListScalarListMetadataIN3c107complexIdEELi2EEENS1_26TernaryOpScalarListFunctorIS6_Li2ELi2ELi0EEEJNS0_11LerpFunctorIS6_EEEEEvT_T0_DpT1_
    .private_segment_fixed_size: 0
    .sgpr_count:     41
    .sgpr_spill_count: 0
    .symbol:         _ZN2at6native12_GLOBAL__N_125multi_tensor_apply_kernelINS1_28TensorListScalarListMetadataIN3c107complexIdEELi2EEENS1_26TernaryOpScalarListFunctorIS6_Li2ELi2ELi0EEEJNS0_11LerpFunctorIS6_EEEEEvT_T0_DpT1_.kd
    .uniform_work_group_size: 1
    .uses_dynamic_stack: false
    .vgpr_count:     62
    .vgpr_spill_count: 0
    .wavefront_size: 64
  - .agpr_count:     0
    .args:
      - .offset:         0
        .size:           3648
        .value_kind:     by_value
      - .offset:         3648
        .size:           1
        .value_kind:     by_value
      - .offset:         3649
        .size:           1
        .value_kind:     by_value
      - .offset:         3656
        .size:           4
        .value_kind:     hidden_block_count_x
      - .offset:         3660
        .size:           4
        .value_kind:     hidden_block_count_y
      - .offset:         3664
        .size:           4
        .value_kind:     hidden_block_count_z
      - .offset:         3668
        .size:           2
        .value_kind:     hidden_group_size_x
      - .offset:         3670
        .size:           2
        .value_kind:     hidden_group_size_y
      - .offset:         3672
        .size:           2
        .value_kind:     hidden_group_size_z
      - .offset:         3674
        .size:           2
        .value_kind:     hidden_remainder_x
      - .offset:         3676
        .size:           2
        .value_kind:     hidden_remainder_y
      - .offset:         3678
        .size:           2
        .value_kind:     hidden_remainder_z
      - .offset:         3696
        .size:           8
        .value_kind:     hidden_global_offset_x
      - .offset:         3704
        .size:           8
        .value_kind:     hidden_global_offset_y
      - .offset:         3712
        .size:           8
        .value_kind:     hidden_global_offset_z
      - .offset:         3720
        .size:           2
        .value_kind:     hidden_grid_dims
    .group_segment_fixed_size: 0
    .kernarg_segment_align: 8
    .kernarg_segment_size: 3912
    .language:       OpenCL C
    .language_version:
      - 2
      - 0
    .max_flat_workgroup_size: 512
    .name:           _ZN2at6native12_GLOBAL__N_125multi_tensor_apply_kernelINS1_28TensorListScalarListMetadataIN3c107complexIfEELi2EEENS1_26TernaryOpScalarListFunctorIS6_Li2ELi2ELi0EEEJNS0_11LerpFunctorIS6_EEEEEvT_T0_DpT1_
    .private_segment_fixed_size: 0
    .sgpr_count:     35
    .sgpr_spill_count: 0
    .symbol:         _ZN2at6native12_GLOBAL__N_125multi_tensor_apply_kernelINS1_28TensorListScalarListMetadataIN3c107complexIfEELi2EEENS1_26TernaryOpScalarListFunctorIS6_Li2ELi2ELi0EEEJNS0_11LerpFunctorIS6_EEEEEvT_T0_DpT1_.kd
    .uniform_work_group_size: 1
    .uses_dynamic_stack: false
    .vgpr_count:     52
    .vgpr_spill_count: 0
    .wavefront_size: 64
  - .agpr_count:     0
    .args:
      - .offset:         0
        .size:           3392
        .value_kind:     by_value
      - .offset:         3392
        .size:           1
        .value_kind:     by_value
      - .offset:         3393
        .size:           1
        .value_kind:     by_value
      - .offset:         3400
        .size:           4
        .value_kind:     hidden_block_count_x
      - .offset:         3404
        .size:           4
        .value_kind:     hidden_block_count_y
      - .offset:         3408
        .size:           4
        .value_kind:     hidden_block_count_z
      - .offset:         3412
        .size:           2
        .value_kind:     hidden_group_size_x
      - .offset:         3414
        .size:           2
        .value_kind:     hidden_group_size_y
      - .offset:         3416
        .size:           2
        .value_kind:     hidden_group_size_z
      - .offset:         3418
        .size:           2
        .value_kind:     hidden_remainder_x
      - .offset:         3420
        .size:           2
        .value_kind:     hidden_remainder_y
      - .offset:         3422
        .size:           2
        .value_kind:     hidden_remainder_z
      - .offset:         3440
        .size:           8
        .value_kind:     hidden_global_offset_x
      - .offset:         3448
        .size:           8
        .value_kind:     hidden_global_offset_y
      - .offset:         3456
        .size:           8
        .value_kind:     hidden_global_offset_z
      - .offset:         3464
        .size:           2
        .value_kind:     hidden_grid_dims
    .group_segment_fixed_size: 0
    .kernarg_segment_align: 8
    .kernarg_segment_size: 3656
    .language:       OpenCL C
    .language_version:
      - 2
      - 0
    .max_flat_workgroup_size: 512
    .name:           _ZN2at6native12_GLOBAL__N_125multi_tensor_apply_kernelINS1_28TensorListScalarListMetadataIfLi2EEENS1_26TernaryOpScalarListFunctorIN3c104HalfELi2ELi2ELi0EEEJNS0_11LerpFunctorIfEEEEEvT_T0_DpT1_
    .private_segment_fixed_size: 0
    .sgpr_count:     33
    .sgpr_spill_count: 0
    .symbol:         _ZN2at6native12_GLOBAL__N_125multi_tensor_apply_kernelINS1_28TensorListScalarListMetadataIfLi2EEENS1_26TernaryOpScalarListFunctorIN3c104HalfELi2ELi2ELi0EEEJNS0_11LerpFunctorIfEEEEEvT_T0_DpT1_.kd
    .uniform_work_group_size: 1
    .uses_dynamic_stack: false
    .vgpr_count:     36
    .vgpr_spill_count: 0
    .wavefront_size: 64
  - .agpr_count:     0
    .args:
      - .offset:         0
        .size:           3392
        .value_kind:     by_value
      - .offset:         3392
        .size:           1
        .value_kind:     by_value
      - .offset:         3393
        .size:           1
        .value_kind:     by_value
      - .offset:         3400
        .size:           4
        .value_kind:     hidden_block_count_x
      - .offset:         3404
        .size:           4
        .value_kind:     hidden_block_count_y
      - .offset:         3408
        .size:           4
        .value_kind:     hidden_block_count_z
      - .offset:         3412
        .size:           2
        .value_kind:     hidden_group_size_x
      - .offset:         3414
        .size:           2
        .value_kind:     hidden_group_size_y
      - .offset:         3416
        .size:           2
        .value_kind:     hidden_group_size_z
      - .offset:         3418
        .size:           2
        .value_kind:     hidden_remainder_x
      - .offset:         3420
        .size:           2
        .value_kind:     hidden_remainder_y
      - .offset:         3422
        .size:           2
        .value_kind:     hidden_remainder_z
      - .offset:         3440
        .size:           8
        .value_kind:     hidden_global_offset_x
      - .offset:         3448
        .size:           8
        .value_kind:     hidden_global_offset_y
      - .offset:         3456
        .size:           8
        .value_kind:     hidden_global_offset_z
      - .offset:         3464
        .size:           2
        .value_kind:     hidden_grid_dims
    .group_segment_fixed_size: 0
    .kernarg_segment_align: 8
    .kernarg_segment_size: 3656
    .language:       OpenCL C
    .language_version:
      - 2
      - 0
    .max_flat_workgroup_size: 512
    .name:           _ZN2at6native12_GLOBAL__N_125multi_tensor_apply_kernelINS1_28TensorListScalarListMetadataIfLi2EEENS1_26TernaryOpScalarListFunctorIN3c108BFloat16ELi2ELi2ELi0EEEJNS0_11LerpFunctorIfEEEEEvT_T0_DpT1_
    .private_segment_fixed_size: 0
    .sgpr_count:     30
    .sgpr_spill_count: 0
    .symbol:         _ZN2at6native12_GLOBAL__N_125multi_tensor_apply_kernelINS1_28TensorListScalarListMetadataIfLi2EEENS1_26TernaryOpScalarListFunctorIN3c108BFloat16ELi2ELi2ELi0EEEJNS0_11LerpFunctorIfEEEEEvT_T0_DpT1_.kd
    .uniform_work_group_size: 1
    .uses_dynamic_stack: false
    .vgpr_count:     34
    .vgpr_spill_count: 0
    .wavefront_size: 64
amdhsa.target:   amdgcn-amd-amdhsa--gfx90a
amdhsa.version:
  - 1
  - 2
...

	.end_amdgpu_metadata
